;; amdgpu-corpus repo=ROCm/rocFFT kind=compiled arch=gfx950 opt=O3
	.text
	.amdgcn_target "amdgcn-amd-amdhsa--gfx950"
	.amdhsa_code_object_version 6
	.protected	fft_rtc_back_len1078_factors_2_11_7_7_wgs_231_tpt_77_halfLds_dp_ip_CI_unitstride_sbrr_dirReg ; -- Begin function fft_rtc_back_len1078_factors_2_11_7_7_wgs_231_tpt_77_halfLds_dp_ip_CI_unitstride_sbrr_dirReg
	.globl	fft_rtc_back_len1078_factors_2_11_7_7_wgs_231_tpt_77_halfLds_dp_ip_CI_unitstride_sbrr_dirReg
	.p2align	8
	.type	fft_rtc_back_len1078_factors_2_11_7_7_wgs_231_tpt_77_halfLds_dp_ip_CI_unitstride_sbrr_dirReg,@function
fft_rtc_back_len1078_factors_2_11_7_7_wgs_231_tpt_77_halfLds_dp_ip_CI_unitstride_sbrr_dirReg: ; @fft_rtc_back_len1078_factors_2_11_7_7_wgs_231_tpt_77_halfLds_dp_ip_CI_unitstride_sbrr_dirReg
; %bb.0:
	s_load_dwordx2 s[8:9], s[0:1], 0x50
	s_load_dwordx4 s[4:7], s[0:1], 0x0
	s_load_dwordx2 s[10:11], s[0:1], 0x18
	v_mul_u32_u24_e32 v1, 0x354, v0
	v_lshrrev_b32_e32 v2, 16, v1
	v_mad_u64_u32 v[2:3], s[2:3], s2, 3, v[2:3]
	v_mov_b32_e32 v6, 0
	v_mov_b32_e32 v3, v6
	s_waitcnt lgkmcnt(0)
	v_cmp_lt_u64_e64 s[2:3], s[6:7], 2
	s_and_b64 vcc, exec, s[2:3]
	v_mov_b64_e32 v[4:5], 0
	v_mov_b64_e32 v[10:11], v[2:3]
	s_cbranch_vccnz .LBB0_8
; %bb.1:
	s_load_dwordx2 s[2:3], s[0:1], 0x10
	s_add_u32 s12, s10, 8
	s_addc_u32 s13, s11, 0
	s_mov_b64 s[14:15], 1
	v_mov_b64_e32 v[4:5], 0
	s_waitcnt lgkmcnt(0)
	s_add_u32 s16, s2, 8
	s_addc_u32 s17, s3, 0
	v_mov_b64_e32 v[8:9], v[2:3]
.LBB0_2:                                ; =>This Inner Loop Header: Depth=1
	s_load_dwordx2 s[18:19], s[16:17], 0x0
                                        ; implicit-def: $vgpr10_vgpr11
	s_waitcnt lgkmcnt(0)
	v_or_b32_e32 v7, s19, v9
	v_cmp_ne_u64_e32 vcc, 0, v[6:7]
	s_and_saveexec_b64 s[2:3], vcc
	s_xor_b64 s[20:21], exec, s[2:3]
	s_cbranch_execz .LBB0_4
; %bb.3:                                ;   in Loop: Header=BB0_2 Depth=1
	v_cvt_f32_u32_e32 v1, s18
	v_cvt_f32_u32_e32 v3, s19
	s_sub_u32 s2, 0, s18
	s_subb_u32 s3, 0, s19
	v_fmac_f32_e32 v1, 0x4f800000, v3
	v_rcp_f32_e32 v1, v1
	s_nop 0
	v_mul_f32_e32 v1, 0x5f7ffffc, v1
	v_mul_f32_e32 v3, 0x2f800000, v1
	v_trunc_f32_e32 v3, v3
	v_fmac_f32_e32 v1, 0xcf800000, v3
	v_cvt_u32_f32_e32 v3, v3
	v_cvt_u32_f32_e32 v1, v1
	v_mul_lo_u32 v7, s2, v3
	v_mul_hi_u32 v10, s2, v1
	v_mul_lo_u32 v11, s3, v1
	v_add_u32_e32 v7, v10, v7
	v_mul_lo_u32 v14, s2, v1
	v_add_u32_e32 v7, v7, v11
	v_mul_hi_u32 v10, v1, v14
	v_mul_hi_u32 v13, v1, v7
	v_mul_lo_u32 v12, v1, v7
	v_mov_b32_e32 v11, v6
	v_lshl_add_u64 v[10:11], v[10:11], 0, v[12:13]
	v_mul_hi_u32 v13, v3, v14
	v_mul_lo_u32 v14, v3, v14
	v_add_co_u32_e32 v10, vcc, v10, v14
	v_mul_hi_u32 v12, v3, v7
	s_nop 0
	v_addc_co_u32_e32 v10, vcc, v11, v13, vcc
	v_mov_b32_e32 v11, v6
	s_nop 0
	v_addc_co_u32_e32 v13, vcc, 0, v12, vcc
	v_mul_lo_u32 v12, v3, v7
	v_lshl_add_u64 v[10:11], v[10:11], 0, v[12:13]
	v_add_co_u32_e32 v1, vcc, v1, v10
	v_mul_hi_u32 v10, s2, v1
	s_nop 0
	v_addc_co_u32_e32 v3, vcc, v3, v11, vcc
	v_mul_lo_u32 v7, s2, v3
	v_add_u32_e32 v7, v10, v7
	v_mul_lo_u32 v10, s3, v1
	v_add_u32_e32 v7, v7, v10
	v_mul_lo_u32 v12, s2, v1
	v_mul_hi_u32 v15, v3, v12
	v_mul_lo_u32 v16, v3, v12
	v_mul_hi_u32 v11, v1, v7
	;; [unrolled: 2-line block ×3, first 2 shown]
	v_mov_b32_e32 v13, v6
	v_lshl_add_u64 v[10:11], v[12:13], 0, v[10:11]
	v_add_co_u32_e32 v10, vcc, v10, v16
	v_mul_hi_u32 v14, v3, v7
	s_nop 0
	v_addc_co_u32_e32 v10, vcc, v11, v15, vcc
	v_mul_lo_u32 v12, v3, v7
	s_nop 0
	v_addc_co_u32_e32 v13, vcc, 0, v14, vcc
	v_mov_b32_e32 v11, v6
	v_lshl_add_u64 v[10:11], v[10:11], 0, v[12:13]
	v_add_co_u32_e32 v1, vcc, v1, v10
	v_mul_hi_u32 v12, v8, v1
	s_nop 0
	v_addc_co_u32_e32 v3, vcc, v3, v11, vcc
	v_mad_u64_u32 v[10:11], s[2:3], v8, v3, 0
	v_mov_b32_e32 v13, v6
	v_lshl_add_u64 v[10:11], v[12:13], 0, v[10:11]
	v_mad_u64_u32 v[14:15], s[2:3], v9, v1, 0
	v_add_co_u32_e32 v1, vcc, v10, v14
	v_mad_u64_u32 v[12:13], s[2:3], v9, v3, 0
	s_nop 0
	v_addc_co_u32_e32 v10, vcc, v11, v15, vcc
	v_mov_b32_e32 v11, v6
	s_nop 0
	v_addc_co_u32_e32 v13, vcc, 0, v13, vcc
	v_lshl_add_u64 v[10:11], v[10:11], 0, v[12:13]
	v_mul_lo_u32 v1, s19, v10
	v_mul_lo_u32 v3, s18, v11
	v_mad_u64_u32 v[12:13], s[2:3], s18, v10, 0
	v_add3_u32 v1, v13, v3, v1
	v_sub_u32_e32 v3, v9, v1
	v_mov_b32_e32 v7, s19
	v_sub_co_u32_e32 v16, vcc, v8, v12
	v_lshl_add_u64 v[14:15], v[10:11], 0, 1
	s_nop 0
	v_subb_co_u32_e64 v3, s[2:3], v3, v7, vcc
	v_subrev_co_u32_e64 v7, s[2:3], s18, v16
	v_subb_co_u32_e32 v1, vcc, v9, v1, vcc
	s_nop 0
	v_subbrev_co_u32_e64 v3, s[2:3], 0, v3, s[2:3]
	v_cmp_le_u32_e64 s[2:3], s19, v3
	v_cmp_le_u32_e32 vcc, s19, v1
	s_nop 0
	v_cndmask_b32_e64 v12, 0, -1, s[2:3]
	v_cmp_le_u32_e64 s[2:3], s18, v7
	s_nop 1
	v_cndmask_b32_e64 v7, 0, -1, s[2:3]
	v_cmp_eq_u32_e64 s[2:3], s19, v3
	s_nop 1
	v_cndmask_b32_e64 v3, v12, v7, s[2:3]
	v_lshl_add_u64 v[12:13], v[10:11], 0, 2
	v_cmp_ne_u32_e64 s[2:3], 0, v3
	v_cndmask_b32_e64 v7, 0, -1, vcc
	v_cmp_le_u32_e32 vcc, s18, v16
	v_cndmask_b32_e64 v3, v15, v13, s[2:3]
	s_nop 0
	v_cndmask_b32_e64 v13, 0, -1, vcc
	v_cmp_eq_u32_e32 vcc, s19, v1
	s_nop 1
	v_cndmask_b32_e32 v1, v7, v13, vcc
	v_cmp_ne_u32_e32 vcc, 0, v1
	v_cndmask_b32_e64 v1, v14, v12, s[2:3]
	s_nop 0
	v_cndmask_b32_e32 v11, v11, v3, vcc
	v_cndmask_b32_e32 v10, v10, v1, vcc
.LBB0_4:                                ;   in Loop: Header=BB0_2 Depth=1
	s_andn2_saveexec_b64 s[2:3], s[20:21]
	s_cbranch_execz .LBB0_6
; %bb.5:                                ;   in Loop: Header=BB0_2 Depth=1
	v_cvt_f32_u32_e32 v1, s18
	s_sub_i32 s20, 0, s18
	v_mov_b32_e32 v11, v6
	v_rcp_iflag_f32_e32 v1, v1
	s_nop 0
	v_mul_f32_e32 v1, 0x4f7ffffe, v1
	v_cvt_u32_f32_e32 v1, v1
	v_mul_lo_u32 v3, s20, v1
	v_mul_hi_u32 v3, v1, v3
	v_add_u32_e32 v1, v1, v3
	v_mul_hi_u32 v1, v8, v1
	v_mul_lo_u32 v3, v1, s18
	v_sub_u32_e32 v3, v8, v3
	v_add_u32_e32 v7, 1, v1
	v_subrev_u32_e32 v10, s18, v3
	v_cmp_le_u32_e32 vcc, s18, v3
	s_nop 1
	v_cndmask_b32_e32 v3, v3, v10, vcc
	v_cndmask_b32_e32 v1, v1, v7, vcc
	v_add_u32_e32 v7, 1, v1
	v_cmp_le_u32_e32 vcc, s18, v3
	s_nop 1
	v_cndmask_b32_e32 v10, v1, v7, vcc
.LBB0_6:                                ;   in Loop: Header=BB0_2 Depth=1
	s_or_b64 exec, exec, s[2:3]
	v_mad_u64_u32 v[12:13], s[2:3], v10, s18, 0
	s_load_dwordx2 s[2:3], s[12:13], 0x0
	s_add_u32 s14, s14, 1
	v_mul_lo_u32 v1, v11, s18
	v_mul_lo_u32 v3, v10, s19
	s_addc_u32 s15, s15, 0
	v_add3_u32 v1, v13, v3, v1
	v_sub_co_u32_e32 v3, vcc, v8, v12
	s_add_u32 s12, s12, 8
	s_nop 0
	v_subb_co_u32_e32 v1, vcc, v9, v1, vcc
	s_addc_u32 s13, s13, 0
	v_mov_b64_e32 v[8:9], s[6:7]
	s_waitcnt lgkmcnt(0)
	v_mul_lo_u32 v1, s2, v1
	v_mul_lo_u32 v7, s3, v3
	v_mad_u64_u32 v[4:5], s[2:3], s2, v3, v[4:5]
	s_add_u32 s16, s16, 8
	v_cmp_ge_u64_e32 vcc, s[14:15], v[8:9]
	v_add3_u32 v5, v7, v5, v1
	s_addc_u32 s17, s17, 0
	s_cbranch_vccnz .LBB0_8
; %bb.7:                                ;   in Loop: Header=BB0_2 Depth=1
	v_mov_b64_e32 v[8:9], v[10:11]
	s_branch .LBB0_2
.LBB0_8:
	s_lshl_b64 s[2:3], s[6:7], 3
	s_add_u32 s2, s10, s2
	s_addc_u32 s3, s11, s3
	s_load_dwordx2 s[6:7], s[2:3], 0x0
	s_load_dwordx2 s[10:11], s[0:1], 0x20
	s_mov_b32 s2, 0x3531ded
                                        ; implicit-def: $vgpr94_vgpr95
                                        ; implicit-def: $vgpr90_vgpr91
                                        ; implicit-def: $vgpr86_vgpr87
                                        ; implicit-def: $vgpr82_vgpr83
                                        ; implicit-def: $vgpr78_vgpr79
                                        ; implicit-def: $vgpr98_vgpr99
                                        ; implicit-def: $vgpr70_vgpr71
                                        ; implicit-def: $vgpr66_vgpr67
                                        ; implicit-def: $vgpr74_vgpr75
                                        ; implicit-def: $vgpr62_vgpr63
                                        ; implicit-def: $vgpr58_vgpr59
                                        ; implicit-def: $vgpr50_vgpr51
                                        ; implicit-def: $vgpr54_vgpr55
                                        ; implicit-def: $vgpr42_vgpr43
	s_waitcnt lgkmcnt(0)
	v_mul_lo_u32 v1, s6, v11
	v_mul_lo_u32 v3, s7, v10
	v_mad_u64_u32 v[4:5], s[0:1], s6, v10, v[4:5]
	v_add3_u32 v5, v3, v5, v1
	v_mul_hi_u32 v1, v0, s2
	v_mul_u32_u24_e32 v1, 0x4d, v1
	v_cmp_gt_u64_e64 s[0:1], s[10:11], v[10:11]
	v_sub_u32_e32 v126, v0, v1
	v_lshl_add_u64 v[128:129], v[4:5], 4, s[8:9]
	s_and_saveexec_b64 s[2:3], s[0:1]
	s_cbranch_execz .LBB0_10
; %bb.9:
	v_mov_b32_e32 v127, 0
	v_lshl_add_u64 v[0:1], v[126:127], 4, v[128:129]
	v_add_co_u32_e32 v4, vcc, 0x2000, v0
	s_movk_i32 s6, 0x3000
	s_nop 0
	v_addc_co_u32_e32 v5, vcc, 0, v1, vcc
	v_add_co_u32_e32 v6, vcc, s6, v0
	s_movk_i32 s6, 0x1000
	s_nop 0
	v_addc_co_u32_e32 v7, vcc, 0, v1, vcc
	global_load_dwordx4 v[40:43], v[0:1], off
	global_load_dwordx4 v[48:51], v[0:1], off offset:1232
	global_load_dwordx4 v[52:55], v[4:5], off offset:432
	;; [unrolled: 1-line block ×5, first 2 shown]
	v_add_co_u32_e32 v0, vcc, s6, v0
	global_load_dwordx4 v[72:75], v[4:5], off offset:2896
	global_load_dwordx4 v[68:71], v[6:7], off offset:32
	v_addc_co_u32_e32 v1, vcc, 0, v1, vcc
	global_load_dwordx4 v[76:79], v[6:7], off offset:1264
	global_load_dwordx4 v[84:87], v[6:7], off offset:2496
	;; [unrolled: 1-line block ×6, first 2 shown]
.LBB0_10:
	s_or_b64 exec, exec, s[2:3]
	s_mov_b32 s2, 0xaaaaaaab
	v_mul_hi_u32 v0, v2, s2
	v_lshrrev_b32_e32 v0, 1, v0
	v_lshl_add_u32 v0, v0, 1, v0
	v_sub_u32_e32 v0, v2, v0
	v_mul_u32_u24_e32 v4, 0x436, v0
	v_lshlrev_b32_e32 v140, 3, v4
	s_waitcnt vmcnt(11)
	v_add_f64 v[2:3], v[40:41], -v[52:53]
	v_add_u32_e32 v6, 0, v140
	v_fma_f64 v[0:1], v[40:41], 2.0, -v[2:3]
	v_lshl_add_u32 v44, v126, 4, v6
	ds_write_b128 v44, v[0:3]
	s_waitcnt vmcnt(10)
	v_add_f64 v[2:3], v[48:49], -v[56:57]
	v_add_u32_e32 v138, 0x4d, v126
	v_fma_f64 v[0:1], v[48:49], 2.0, -v[2:3]
	v_lshl_add_u32 v45, v138, 4, v6
	ds_write_b128 v45, v[0:3]
	s_waitcnt vmcnt(7)
	v_add_f64 v[2:3], v[60:61], -v[72:73]
	v_fma_f64 v[0:1], v[60:61], 2.0, -v[2:3]
	ds_write_b128 v44, v[0:3] offset:2464
	s_waitcnt vmcnt(6)
	v_add_f64 v[2:3], v[64:65], -v[68:69]
	v_fma_f64 v[0:1], v[64:65], 2.0, -v[2:3]
	ds_write_b128 v44, v[0:3] offset:3696
	;; [unrolled: 4-line block ×3, first 2 shown]
	v_add_f64 v[4:5], v[80:81], -v[84:85]
	v_lshlrev_b32_e32 v0, 3, v126
	v_fma_f64 v[2:3], v[80:81], 2.0, -v[4:5]
	s_waitcnt vmcnt(0)
	v_add_f64 v[12:13], v[88:89], -v[92:93]
	v_add_u32_e32 v127, v6, v0
	v_add3_u32 v139, 0, v0, v140
	v_fma_f64 v[10:11], v[88:89], 2.0, -v[12:13]
	ds_write_b128 v44, v[2:5] offset:6160
	ds_write_b128 v44, v[10:13] offset:7392
	s_waitcnt lgkmcnt(0)
	s_barrier
	v_add_u32_e32 v56, 0x800, v139
	v_add_u32_e32 v57, 0xc00, v139
	;; [unrolled: 1-line block ×4, first 2 shown]
	ds_read_b64 v[130:131], v127
	ds_read2_b64 v[46:49], v139 offset0:98 offset1:196
	ds_read2_b64 v[38:41], v56 offset0:38 offset1:136
	;; [unrolled: 1-line block ×5, first 2 shown]
	v_cmp_gt_u32_e32 vcc, 21, v126
	v_add_u32_e32 v68, 0x9a0, v44
	v_add_u32_e32 v65, 0x1340, v44
	;; [unrolled: 1-line block ×3, first 2 shown]
                                        ; implicit-def: $vgpr132_vgpr133
                                        ; implicit-def: $vgpr8_vgpr9
                                        ; implicit-def: $vgpr20_vgpr21
                                        ; implicit-def: $vgpr24_vgpr25
                                        ; implicit-def: $vgpr28_vgpr29
	s_and_saveexec_b64 s[2:3], vcc
	s_cbranch_execz .LBB0_12
; %bb.11:
	v_add_u32_e32 v4, 0x1000, v139
	ds_read2_b64 v[0:3], v139 offset0:77 offset1:175
	ds_read2_b64 v[26:29], v56 offset0:17 offset1:115
	;; [unrolled: 1-line block ×5, first 2 shown]
	ds_read_b64 v[132:133], v139 offset:8456
	s_waitcnt lgkmcnt(5)
	v_mov_b64_e32 v[10:11], v[2:3]
	s_waitcnt lgkmcnt(4)
	v_mov_b64_e32 v[12:13], v[26:27]
	v_mov_b64_e32 v[4:5], v[0:1]
.LBB0_12:
	s_or_b64 exec, exec, s[2:3]
	v_add_f64 v[102:103], v[42:43], -v[54:55]
	v_add_f64 v[74:75], v[62:63], -v[74:75]
	;; [unrolled: 1-line block ×4, first 2 shown]
	v_fma_f64 v[100:101], v[42:43], 2.0, -v[102:103]
	v_add_f64 v[106:107], v[50:51], -v[58:59]
	v_fma_f64 v[72:73], v[62:63], 2.0, -v[74:75]
	v_add_f64 v[110:111], v[66:67], -v[70:71]
	v_fma_f64 v[76:77], v[98:99], 2.0, -v[78:79]
	v_fma_f64 v[0:1], v[82:83], 2.0, -v[2:3]
	v_add_f64 v[52:53], v[90:91], -v[94:95]
	v_fma_f64 v[104:105], v[50:51], 2.0, -v[106:107]
	v_fma_f64 v[108:109], v[66:67], 2.0, -v[110:111]
	;; [unrolled: 1-line block ×3, first 2 shown]
	s_waitcnt lgkmcnt(0)
	s_barrier
	ds_write_b128 v44, v[100:103]
	ds_write_b128 v45, v[104:107]
	;; [unrolled: 1-line block ×3, first 2 shown]
	ds_write_b128 v44, v[108:111] offset:3696
	ds_write_b128 v65, v[76:79]
	ds_write_b128 v44, v[0:3] offset:6160
	ds_write_b128 v64, v[50:53]
	s_waitcnt lgkmcnt(0)
	s_barrier
	ds_read_b64 v[0:1], v127
	ds_read2_b64 v[82:85], v139 offset0:98 offset1:196
	ds_read2_b64 v[78:81], v56 offset0:38 offset1:136
	;; [unrolled: 1-line block ×5, first 2 shown]
                                        ; implicit-def: $vgpr136_vgpr137
                                        ; implicit-def: $vgpr44_vgpr45
                                        ; implicit-def: $vgpr56_vgpr57
                                        ; implicit-def: $vgpr64_vgpr65
                                        ; implicit-def: $vgpr68_vgpr69
	s_and_saveexec_b64 s[2:3], vcc
	s_cbranch_execz .LBB0_14
; %bb.13:
	v_add_u32_e32 v2, 0x800, v139
	ds_read2_b64 v[66:69], v2 offset0:17 offset1:115
	v_add_u32_e32 v2, 0xc00, v139
	ds_read2_b64 v[62:65], v2 offset0:85 offset1:183
	;; [unrolled: 2-line block ×3, first 2 shown]
	ds_read2_b64 v[54:57], v2 offset0:153 offset1:251
	v_add_u32_e32 v2, 0x1800, v139
	ds_read2_b64 v[42:45], v2 offset0:93 offset1:191
	ds_read_b64 v[136:137], v139 offset:8456
	s_waitcnt lgkmcnt(5)
	v_mov_b64_e32 v[52:53], v[66:67]
	s_waitcnt lgkmcnt(3)
	v_mov_b64_e32 v[50:51], v[88:89]
	v_mov_b64_e32 v[2:3], v[86:87]
.LBB0_14:
	s_or_b64 exec, exec, s[2:3]
	v_and_b32_e32 v142, 1, v126
	v_mul_u32_u24_e32 v26, 10, v142
	v_lshlrev_b32_e32 v26, 4, v26
	global_load_dwordx4 v[114:117], v26, s[4:5]
	global_load_dwordx4 v[110:113], v26, s[4:5] offset:16
	global_load_dwordx4 v[106:109], v26, s[4:5] offset:32
	;; [unrolled: 1-line block ×9, first 2 shown]
	v_and_b32_e32 v141, 1, v138
	v_mul_u32_u24_e32 v26, 10, v141
	v_lshlrev_b32_e32 v66, 4, v26
	global_load_dwordx4 v[144:147], v66, s[4:5]
	global_load_dwordx4 v[148:151], v66, s[4:5] offset:16
	global_load_dwordx4 v[152:155], v66, s[4:5] offset:32
	;; [unrolled: 1-line block ×8, first 2 shown]
	s_mov_b32 s2, 0xf8bb580b
	s_mov_b32 s6, 0x8eee2c13
	;; [unrolled: 1-line block ×28, first 2 shown]
	s_waitcnt vmcnt(18) lgkmcnt(4)
	v_mul_f64 v[134:135], v[82:83], v[116:117]
	v_mul_f64 v[26:27], v[46:47], v[116:117]
	v_fmac_f64_e32 v[134:135], v[46:47], v[114:115]
	v_fma_f64 v[116:117], v[82:83], v[114:115], -v[26:27]
	s_waitcnt vmcnt(17)
	v_mul_f64 v[114:115], v[84:85], v[112:113]
	v_mul_f64 v[26:27], v[48:49], v[112:113]
	v_fmac_f64_e32 v[114:115], v[48:49], v[110:111]
	v_fma_f64 v[84:85], v[84:85], v[110:111], -v[26:27]
	global_load_dwordx4 v[110:113], v66, s[4:5] offset:112
	s_waitcnt vmcnt(17) lgkmcnt(3)
	v_mul_f64 v[26:27], v[78:79], v[108:109]
	v_mul_f64 v[46:47], v[38:39], v[108:109]
	v_fmac_f64_e32 v[26:27], v[38:39], v[106:107]
	v_fma_f64 v[78:79], v[78:79], v[106:107], -v[46:47]
	s_waitcnt vmcnt(16)
	v_mul_f64 v[106:107], v[80:81], v[88:89]
	v_mul_f64 v[38:39], v[40:41], v[88:89]
	v_fmac_f64_e32 v[106:107], v[40:41], v[86:87]
	v_fma_f64 v[86:87], v[80:81], v[86:87], -v[38:39]
	s_waitcnt vmcnt(15) lgkmcnt(2)
	v_mul_f64 v[80:81], v[74:75], v[104:105]
	v_mul_f64 v[38:39], v[34:35], v[104:105]
	s_waitcnt vmcnt(14)
	v_mul_f64 v[82:83], v[76:77], v[100:101]
	v_fmac_f64_e32 v[80:81], v[34:35], v[102:103]
	s_waitcnt vmcnt(13)
	v_mul_f64 v[34:35], v[30:31], v[96:97]
	v_mul_f64 v[40:41], v[36:37], v[100:101]
	s_waitcnt lgkmcnt(1)
	v_mul_f64 v[88:89], v[70:71], v[96:97]
	v_fmac_f64_e32 v[82:83], v[36:37], v[98:99]
	s_waitcnt vmcnt(12)
	v_mul_f64 v[96:97], v[72:73], v[92:93]
	v_mul_f64 v[36:37], v[32:33], v[92:93]
	v_fma_f64 v[92:93], v[70:71], v[94:95], -v[34:35]
	s_waitcnt vmcnt(9)
	v_mul_f64 v[70:71], v[50:51], v[146:147]
	v_fma_f64 v[74:75], v[74:75], v[102:103], -v[38:39]
	v_fma_f64 v[76:77], v[76:77], v[98:99], -v[40:41]
	s_waitcnt lgkmcnt(0)
	v_mul_f64 v[98:99], v[58:59], v[124:125]
	v_mul_f64 v[38:39], v[14:15], v[124:125]
	;; [unrolled: 1-line block ×5, first 2 shown]
	v_fmac_f64_e32 v[96:97], v[32:33], v[90:91]
	s_waitcnt vmcnt(8)
	v_mul_f64 v[32:33], v[12:13], v[150:151]
	v_fmac_f64_e32 v[70:71], v[10:11], v[144:145]
	s_waitcnt vmcnt(4)
	v_mul_f64 v[10:11], v[18:19], v[166:167]
	v_mul_f64 v[66:67], v[52:53], v[150:151]
	;; [unrolled: 1-line block ×3, first 2 shown]
	v_fmac_f64_e32 v[98:99], v[14:15], v[122:123]
	v_fma_f64 v[14:15], v[58:59], v[122:123], -v[38:39]
	v_fmac_f64_e32 v[100:101], v[16:17], v[118:119]
	v_fma_f64 v[16:17], v[60:61], v[118:119], -v[40:41]
	v_fma_f64 v[60:61], v[50:51], v[144:145], -v[34:35]
	;; [unrolled: 1-line block ×4, first 2 shown]
	s_waitcnt vmcnt(3)
	v_mul_f64 v[10:11], v[20:21], v[170:171]
	v_fmac_f64_e32 v[88:89], v[30:31], v[94:95]
	v_mul_f64 v[30:31], v[64:65], v[162:163]
	v_fma_f64 v[50:51], v[68:69], v[152:153], -v[46:47]
	v_mul_f64 v[32:33], v[54:55], v[166:167]
	v_mul_f64 v[40:41], v[56:57], v[170:171]
	v_fma_f64 v[46:47], v[56:57], v[168:169], -v[10:11]
	s_waitcnt vmcnt(2)
	v_mul_f64 v[54:55], v[44:45], v[174:175]
	v_add_f64 v[10:11], v[116:117], -v[16:17]
	v_fma_f64 v[72:73], v[72:73], v[90:91], -v[36:37]
	v_mul_f64 v[48:49], v[68:69], v[154:155]
	v_mul_f64 v[36:37], v[62:63], v[158:159]
	;; [unrolled: 1-line block ×4, first 2 shown]
	v_fmac_f64_e32 v[66:67], v[12:13], v[148:149]
	v_fmac_f64_e32 v[30:31], v[24:25], v[160:161]
	;; [unrolled: 1-line block ×4, first 2 shown]
	v_mul_f64 v[12:13], v[10:11], s[2:3]
	v_mul_f64 v[20:21], v[10:11], s[6:7]
	;; [unrolled: 1-line block ×5, first 2 shown]
	v_add_f64 v[102:103], v[84:85], -v[14:15]
	v_fmac_f64_e32 v[48:49], v[28:29], v[152:153]
	v_fmac_f64_e32 v[36:37], v[22:23], v[156:157]
	v_fma_f64 v[38:39], v[62:63], v[156:157], -v[90:91]
	v_fma_f64 v[28:29], v[64:65], v[160:161], -v[94:95]
	v_fmac_f64_e32 v[32:33], v[18:19], v[164:165]
	v_mul_f64 v[104:105], v[102:103], s[6:7]
	s_waitcnt vmcnt(1)
	v_mul_f64 v[56:57], v[136:137], v[178:179]
	v_fmac_f64_e32 v[56:57], v[132:133], v[176:177]
	s_barrier
	s_waitcnt vmcnt(0)
	v_mul_f64 v[52:53], v[42:43], v[112:113]
	v_fmac_f64_e32 v[52:53], v[6:7], v[110:111]
	v_mul_f64 v[6:7], v[6:7], v[112:113]
	v_fma_f64 v[42:43], v[42:43], v[110:111], -v[6:7]
	v_mul_f64 v[6:7], v[8:9], v[174:175]
	v_add_f64 v[8:9], v[134:135], v[100:101]
	v_fma_f64 v[18:19], s[8:9], v[8:9], v[12:13]
	v_fma_f64 v[12:13], v[8:9], s[8:9], -v[12:13]
	v_fma_f64 v[22:23], s[12:13], v[8:9], v[20:21]
	v_fma_f64 v[20:21], v[8:9], s[12:13], -v[20:21]
	;; [unrolled: 2-line block ×5, first 2 shown]
	v_add_f64 v[10:11], v[114:115], v[98:99]
	v_add_f64 v[12:13], v[130:131], v[12:13]
	v_fma_f64 v[108:109], s[12:13], v[10:11], v[104:105]
	v_fma_f64 v[104:105], v[10:11], s[12:13], -v[104:105]
	v_add_f64 v[18:19], v[130:131], v[18:19]
	v_add_f64 v[12:13], v[104:105], v[12:13]
	v_mul_f64 v[104:105], v[102:103], s[16:17]
	v_add_f64 v[20:21], v[130:131], v[20:21]
	v_add_f64 v[18:19], v[108:109], v[18:19]
	v_fma_f64 v[108:109], s[18:19], v[10:11], v[104:105]
	v_fma_f64 v[104:105], v[10:11], s[18:19], -v[104:105]
	v_add_f64 v[22:23], v[130:131], v[22:23]
	v_add_f64 v[20:21], v[104:105], v[20:21]
	v_mul_f64 v[104:105], v[102:103], s[26:27]
	;; [unrolled: 7-line block ×3, first 2 shown]
	v_add_f64 v[68:69], v[130:131], v[68:69]
	v_add_f64 v[64:65], v[108:109], v[64:65]
	v_fma_f64 v[108:109], s[14:15], v[10:11], v[104:105]
	v_fma_f64 v[104:105], v[10:11], s[14:15], -v[104:105]
	v_mul_f64 v[102:103], v[102:103], s[28:29]
	v_add_f64 v[94:95], v[130:131], v[94:95]
	v_add_f64 v[8:9], v[130:131], v[8:9]
	;; [unrolled: 1-line block ×3, first 2 shown]
	v_fma_f64 v[104:105], s[8:9], v[10:11], v[102:103]
	v_fma_f64 v[10:11], v[10:11], s[8:9], -v[102:103]
	v_add_f64 v[102:103], v[78:79], -v[72:73]
	v_add_f64 v[90:91], v[130:131], v[90:91]
	v_add_f64 v[94:95], v[104:105], v[94:95]
	;; [unrolled: 1-line block ×4, first 2 shown]
	v_mul_f64 v[104:105], v[102:103], s[10:11]
	v_add_f64 v[90:91], v[108:109], v[90:91]
	v_fma_f64 v[108:109], s[14:15], v[10:11], v[104:105]
	v_fma_f64 v[104:105], v[10:11], s[14:15], -v[104:105]
	v_add_f64 v[12:13], v[104:105], v[12:13]
	v_mul_f64 v[104:105], v[102:103], s[26:27]
	v_add_f64 v[18:19], v[108:109], v[18:19]
	v_fma_f64 v[108:109], s[22:23], v[10:11], v[104:105]
	v_fma_f64 v[104:105], v[10:11], s[22:23], -v[104:105]
	v_add_f64 v[20:21], v[104:105], v[20:21]
	;; [unrolled: 5-line block ×3, first 2 shown]
	v_mul_f64 v[104:105], v[102:103], s[2:3]
	v_add_f64 v[64:65], v[108:109], v[64:65]
	v_fma_f64 v[108:109], s[8:9], v[10:11], v[104:105]
	v_fma_f64 v[104:105], v[10:11], s[8:9], -v[104:105]
	v_mul_f64 v[102:103], v[102:103], s[16:17]
	v_add_f64 v[68:69], v[104:105], v[68:69]
	v_fma_f64 v[104:105], s[18:19], v[10:11], v[102:103]
	v_fma_f64 v[10:11], v[10:11], s[18:19], -v[102:103]
	v_add_f64 v[102:103], v[86:87], -v[92:93]
	v_add_f64 v[94:95], v[104:105], v[94:95]
	v_add_f64 v[8:9], v[10:11], v[8:9]
	;; [unrolled: 1-line block ×3, first 2 shown]
	v_mul_f64 v[104:105], v[102:103], s[16:17]
	v_add_f64 v[90:91], v[108:109], v[90:91]
	v_fma_f64 v[108:109], s[18:19], v[10:11], v[104:105]
	v_fma_f64 v[104:105], v[10:11], s[18:19], -v[104:105]
	v_add_f64 v[12:13], v[104:105], v[12:13]
	v_mul_f64 v[104:105], v[102:103], s[24:25]
	v_add_f64 v[18:19], v[108:109], v[18:19]
	v_fma_f64 v[108:109], s[14:15], v[10:11], v[104:105]
	v_fma_f64 v[104:105], v[10:11], s[14:15], -v[104:105]
	v_add_f64 v[20:21], v[104:105], v[20:21]
	;; [unrolled: 5-line block ×3, first 2 shown]
	v_mul_f64 v[104:105], v[102:103], s[20:21]
	v_add_f64 v[64:65], v[108:109], v[64:65]
	v_fma_f64 v[108:109], s[22:23], v[10:11], v[104:105]
	v_fma_f64 v[104:105], v[10:11], s[22:23], -v[104:105]
	v_mul_f64 v[102:103], v[102:103], s[30:31]
	v_add_f64 v[68:69], v[104:105], v[68:69]
	v_fma_f64 v[104:105], s[12:13], v[10:11], v[102:103]
	v_fma_f64 v[10:11], v[10:11], s[12:13], -v[102:103]
	v_add_f64 v[102:103], v[74:75], -v[76:77]
	v_add_f64 v[94:95], v[104:105], v[94:95]
	v_add_f64 v[8:9], v[10:11], v[8:9]
	v_add_f64 v[10:11], v[80:81], v[82:83]
	v_mul_f64 v[104:105], v[102:103], s[20:21]
	v_add_f64 v[90:91], v[108:109], v[90:91]
	v_fma_f64 v[108:109], s[22:23], v[10:11], v[104:105]
	v_fma_f64 v[104:105], v[10:11], s[22:23], -v[104:105]
	v_add_f64 v[12:13], v[104:105], v[12:13]
	v_mul_f64 v[104:105], v[102:103], s[28:29]
	v_add_f64 v[18:19], v[108:109], v[18:19]
	v_fma_f64 v[108:109], s[8:9], v[10:11], v[104:105]
	v_fma_f64 v[104:105], v[10:11], s[8:9], -v[104:105]
	v_add_f64 v[20:21], v[104:105], v[20:21]
	v_mul_f64 v[104:105], v[102:103], s[16:17]
	v_fma_f64 v[44:45], v[44:45], v[172:173], -v[6:7]
	v_mul_f64 v[6:7], v[132:133], v[178:179]
	v_add_f64 v[22:23], v[108:109], v[22:23]
	v_fma_f64 v[108:109], s[18:19], v[10:11], v[104:105]
	v_fma_f64 v[104:105], v[10:11], s[18:19], -v[104:105]
	v_fma_f64 v[62:63], v[136:137], v[176:177], -v[6:7]
	v_add_f64 v[6:7], v[130:131], v[134:135]
	v_add_f64 v[24:25], v[104:105], v[24:25]
	v_mul_f64 v[104:105], v[102:103], s[30:31]
	v_add_f64 v[6:7], v[6:7], v[114:115]
	v_add_f64 v[64:65], v[108:109], v[64:65]
	v_fma_f64 v[108:109], s[12:13], v[10:11], v[104:105]
	v_add_f64 v[6:7], v[6:7], v[26:27]
	v_add_f64 v[108:109], v[108:109], v[90:91]
	v_fma_f64 v[90:91], v[10:11], s[12:13], -v[104:105]
	v_add_f64 v[6:7], v[6:7], v[106:107]
	v_add_f64 v[68:69], v[90:91], v[68:69]
	v_mul_f64 v[90:91], v[102:103], s[10:11]
	v_add_f64 v[6:7], v[6:7], v[80:81]
	v_fma_f64 v[102:103], s[14:15], v[10:11], v[90:91]
	v_fma_f64 v[10:11], v[10:11], s[14:15], -v[90:91]
	v_add_f64 v[6:7], v[6:7], v[82:83]
	v_add_f64 v[8:9], v[10:11], v[8:9]
	v_lshrrev_b32_e32 v10, 1, v126
	v_add_f64 v[6:7], v[6:7], v[88:89]
	v_mul_u32_u24_e32 v10, 22, v10
	v_add_f64 v[6:7], v[6:7], v[96:97]
	v_or_b32_e32 v10, v10, v142
	v_add_f64 v[6:7], v[6:7], v[98:99]
	v_lshlrev_b32_e32 v10, 3, v10
	v_add_f64 v[6:7], v[6:7], v[100:101]
	v_add3_u32 v91, 0, v10, v140
	v_lshrrev_b32_e32 v90, 1, v138
	v_add_f64 v[94:95], v[102:103], v[94:95]
	ds_write2_b64 v91, v[6:7], v[18:19] offset1:2
	ds_write2_b64 v91, v[22:23], v[64:65] offset0:4 offset1:6
	ds_write2_b64 v91, v[108:109], v[94:95] offset0:8 offset1:10
	;; [unrolled: 1-line block ×4, first 2 shown]
	ds_write_b64 v91, v[12:13] offset:160
	s_and_saveexec_b64 s[34:35], vcc
	s_cbranch_execz .LBB0_16
; %bb.15:
	v_add_f64 v[120:121], v[60:61], -v[62:63]
	v_add_f64 v[108:109], v[58:59], -v[44:45]
	v_add_f64 v[118:119], v[70:71], v[56:57]
	v_mul_f64 v[122:123], v[120:121], s[20:21]
	v_add_f64 v[68:69], v[50:51], -v[42:43]
	v_add_f64 v[104:105], v[66:67], v[54:55]
	v_mul_f64 v[110:111], v[108:109], s[28:29]
	v_fma_f64 v[124:125], v[118:119], s[22:23], -v[122:123]
	v_add_f64 v[20:21], v[38:39], -v[46:47]
	v_add_f64 v[64:65], v[48:49], v[52:53]
	v_mul_f64 v[94:95], v[68:69], s[16:17]
	v_fma_f64 v[112:113], v[104:105], s[8:9], -v[110:111]
	v_add_f64 v[124:125], v[4:5], v[124:125]
	v_add_f64 v[8:9], v[28:29], -v[34:35]
	v_add_f64 v[18:19], v[36:37], v[40:41]
	v_mul_f64 v[22:23], v[20:21], s[30:31]
	v_fma_f64 v[102:103], v[64:65], s[18:19], -v[94:95]
	v_add_f64 v[112:113], v[112:113], v[124:125]
	v_add_f64 v[6:7], v[30:31], v[32:33]
	v_mul_f64 v[10:11], v[8:9], s[10:11]
	v_fma_f64 v[24:25], v[18:19], s[12:13], -v[22:23]
	v_add_f64 v[102:103], v[102:103], v[112:113]
	v_fma_f64 v[12:13], v[6:7], s[14:15], -v[10:11]
	v_add_f64 v[24:25], v[24:25], v[102:103]
	v_fmac_f64_e32 v[122:123], s[22:23], v[118:119]
	v_add_f64 v[12:13], v[12:13], v[24:25]
	v_fmac_f64_e32 v[110:111], s[8:9], v[104:105]
	v_add_f64 v[24:25], v[4:5], v[122:123]
	v_mul_f64 v[130:131], v[120:121], s[16:17]
	v_fmac_f64_e32 v[94:95], s[18:19], v[64:65]
	v_add_f64 v[24:25], v[110:111], v[24:25]
	v_mul_f64 v[122:123], v[108:109], s[24:25]
	v_fma_f64 v[132:133], v[118:119], s[18:19], -v[130:131]
	v_fmac_f64_e32 v[22:23], s[12:13], v[18:19]
	v_add_f64 v[24:25], v[94:95], v[24:25]
	v_mul_f64 v[110:111], v[68:69], s[2:3]
	v_fma_f64 v[124:125], v[104:105], s[14:15], -v[122:123]
	v_add_f64 v[132:133], v[4:5], v[132:133]
	v_fmac_f64_e32 v[10:11], s[14:15], v[6:7]
	v_add_f64 v[22:23], v[22:23], v[24:25]
	v_mul_f64 v[94:95], v[20:21], s[20:21]
	v_fma_f64 v[112:113], v[64:65], s[8:9], -v[110:111]
	v_add_f64 v[124:125], v[124:125], v[132:133]
	v_add_f64 v[10:11], v[10:11], v[22:23]
	v_mul_f64 v[22:23], v[8:9], s[30:31]
	v_fma_f64 v[102:103], v[18:19], s[22:23], -v[94:95]
	v_add_f64 v[112:113], v[112:113], v[124:125]
	v_fma_f64 v[24:25], v[6:7], s[12:13], -v[22:23]
	v_add_f64 v[102:103], v[102:103], v[112:113]
	v_fmac_f64_e32 v[130:131], s[18:19], v[118:119]
	v_add_f64 v[24:25], v[24:25], v[102:103]
	v_fmac_f64_e32 v[122:123], s[14:15], v[104:105]
	v_add_f64 v[102:103], v[4:5], v[130:131]
	v_mul_f64 v[136:137], v[120:121], s[10:11]
	v_fmac_f64_e32 v[110:111], s[8:9], v[64:65]
	v_add_f64 v[102:103], v[122:123], v[102:103]
	v_mul_f64 v[130:131], v[108:109], s[26:27]
	v_fma_f64 v[142:143], v[118:119], s[14:15], -v[136:137]
	v_fmac_f64_e32 v[94:95], s[22:23], v[18:19]
	v_add_f64 v[102:103], v[110:111], v[102:103]
	v_mul_f64 v[122:123], v[68:69], s[30:31]
	v_fma_f64 v[132:133], v[104:105], s[22:23], -v[130:131]
	v_add_f64 v[142:143], v[4:5], v[142:143]
	v_fmac_f64_e32 v[22:23], s[12:13], v[6:7]
	v_add_f64 v[94:95], v[94:95], v[102:103]
	v_mul_f64 v[110:111], v[20:21], s[2:3]
	v_fma_f64 v[124:125], v[64:65], s[12:13], -v[122:123]
	v_add_f64 v[132:133], v[132:133], v[142:143]
	v_add_f64 v[22:23], v[22:23], v[94:95]
	v_mul_f64 v[94:95], v[8:9], s[16:17]
	v_fma_f64 v[112:113], v[18:19], s[8:9], -v[110:111]
	v_add_f64 v[124:125], v[124:125], v[132:133]
	v_fma_f64 v[102:103], v[6:7], s[18:19], -v[94:95]
	v_add_f64 v[112:113], v[112:113], v[124:125]
	v_fmac_f64_e32 v[136:137], s[14:15], v[118:119]
	v_add_f64 v[102:103], v[102:103], v[112:113]
	v_fmac_f64_e32 v[130:131], s[22:23], v[104:105]
	v_add_f64 v[112:113], v[4:5], v[136:137]
	v_mul_f64 v[144:145], v[120:121], s[6:7]
	v_fmac_f64_e32 v[122:123], s[12:13], v[64:65]
	v_add_f64 v[112:113], v[130:131], v[112:113]
	v_mul_f64 v[136:137], v[108:109], s[16:17]
	v_fma_f64 v[146:147], v[118:119], s[12:13], -v[144:145]
	v_fmac_f64_e32 v[110:111], s[8:9], v[18:19]
	v_add_f64 v[112:113], v[122:123], v[112:113]
	v_mul_f64 v[130:131], v[68:69], s[26:27]
	v_fma_f64 v[142:143], v[104:105], s[18:19], -v[136:137]
	v_add_f64 v[146:147], v[4:5], v[146:147]
	v_fmac_f64_e32 v[94:95], s[18:19], v[6:7]
	v_add_f64 v[110:111], v[110:111], v[112:113]
	v_mul_f64 v[122:123], v[20:21], s[24:25]
	v_fma_f64 v[132:133], v[64:65], s[22:23], -v[130:131]
	v_add_f64 v[142:143], v[142:143], v[146:147]
	v_add_f64 v[94:95], v[94:95], v[110:111]
	v_mul_f64 v[110:111], v[8:9], s[28:29]
	v_fma_f64 v[124:125], v[18:19], s[14:15], -v[122:123]
	v_add_f64 v[132:133], v[132:133], v[142:143]
	v_fma_f64 v[112:113], v[6:7], s[8:9], -v[110:111]
	v_add_f64 v[124:125], v[124:125], v[132:133]
	v_fmac_f64_e32 v[144:145], s[12:13], v[118:119]
	v_add_f64 v[112:113], v[112:113], v[124:125]
	v_fmac_f64_e32 v[136:137], s[18:19], v[104:105]
	;; [unrolled: 2-line block ×4, first 2 shown]
	v_add_f64 v[124:125], v[130:131], v[124:125]
	v_mul_f64 v[120:121], v[120:121], s[2:3]
	v_fmac_f64_e32 v[110:111], s[8:9], v[6:7]
	v_add_f64 v[122:123], v[122:123], v[124:125]
	v_mul_f64 v[8:9], v[8:9], s[20:21]
	v_fma_f64 v[136:137], v[118:119], s[8:9], -v[120:121]
	v_fmac_f64_e32 v[120:121], s[8:9], v[118:119]
	v_add_f64 v[110:111], v[110:111], v[122:123]
	v_fma_f64 v[122:123], v[6:7], s[22:23], -v[8:9]
	v_add_f64 v[136:137], v[4:5], v[136:137]
	v_fmac_f64_e32 v[8:9], s[22:23], v[6:7]
	v_add_f64 v[6:7], v[4:5], v[120:121]
	v_add_f64 v[4:5], v[4:5], v[70:71]
	v_mul_f64 v[108:109], v[108:109], s[6:7]
	v_add_f64 v[4:5], v[4:5], v[66:67]
	v_mul_f64 v[68:69], v[68:69], s[10:11]
	v_fma_f64 v[132:133], v[104:105], s[12:13], -v[108:109]
	v_fmac_f64_e32 v[108:109], s[12:13], v[104:105]
	v_add_f64 v[4:5], v[4:5], v[48:49]
	v_mul_f64 v[20:21], v[20:21], s[16:17]
	v_fma_f64 v[130:131], v[64:65], s[14:15], -v[68:69]
	v_fmac_f64_e32 v[68:69], s[14:15], v[64:65]
	v_add_f64 v[6:7], v[108:109], v[6:7]
	v_add_f64 v[4:5], v[4:5], v[36:37]
	v_fma_f64 v[124:125], v[18:19], s[18:19], -v[20:21]
	v_fmac_f64_e32 v[20:21], s[18:19], v[18:19]
	v_add_f64 v[6:7], v[68:69], v[6:7]
	v_add_f64 v[4:5], v[4:5], v[30:31]
	;; [unrolled: 1-line block ×6, first 2 shown]
	v_mul_u32_u24_e32 v8, 22, v90
	v_add_f64 v[132:133], v[132:133], v[136:137]
	v_add_f64 v[4:5], v[4:5], v[52:53]
	v_or_b32_e32 v8, v8, v141
	v_add_f64 v[130:131], v[130:131], v[132:133]
	v_add_f64 v[4:5], v[4:5], v[54:55]
	v_lshlrev_b32_e32 v8, 3, v8
	v_add_f64 v[124:125], v[124:125], v[130:131]
	v_add_f64 v[4:5], v[4:5], v[56:57]
	v_add3_u32 v8, 0, v8, v140
	v_add_f64 v[122:123], v[122:123], v[124:125]
	ds_write2_b64 v8, v[4:5], v[6:7] offset1:2
	ds_write2_b64 v8, v[110:111], v[94:95] offset0:4 offset1:6
	ds_write2_b64 v8, v[22:23], v[10:11] offset0:8 offset1:10
	;; [unrolled: 1-line block ×4, first 2 shown]
	ds_write_b64 v8, v[122:123] offset:160
.LBB0_16:
	s_or_b64 exec, exec, s[34:35]
	v_add_f64 v[4:5], v[0:1], v[116:117]
	v_add_f64 v[4:5], v[4:5], v[84:85]
	v_add_f64 v[4:5], v[4:5], v[78:79]
	v_add_f64 v[4:5], v[4:5], v[86:87]
	v_add_f64 v[4:5], v[4:5], v[74:75]
	v_add_f64 v[4:5], v[4:5], v[76:77]
	v_add_f64 v[4:5], v[4:5], v[92:93]
	v_add_f64 v[4:5], v[4:5], v[72:73]
	v_add_f64 v[4:5], v[4:5], v[14:15]
	v_add_f64 v[94:95], v[4:5], v[16:17]
	v_add_f64 v[4:5], v[116:117], v[16:17]
	v_add_f64 v[6:7], v[134:135], -v[100:101]
	v_mul_f64 v[8:9], v[4:5], s[8:9]
	v_mul_f64 v[12:13], v[4:5], s[12:13]
	;; [unrolled: 1-line block ×4, first 2 shown]
	s_mov_b32 s35, 0x3fe82f19
	s_mov_b32 s34, s16
	v_mul_f64 v[4:5], v[4:5], s[22:23]
	v_fma_f64 v[10:11], s[28:29], v[6:7], v[8:9]
	v_fmac_f64_e32 v[8:9], s[2:3], v[6:7]
	v_fma_f64 v[16:17], s[30:31], v[6:7], v[12:13]
	v_fmac_f64_e32 v[12:13], s[6:7], v[6:7]
	v_fma_f64 v[20:21], s[24:25], v[6:7], v[18:19]
	v_fmac_f64_e32 v[18:19], s[10:11], v[6:7]
	v_fma_f64 v[24:25], s[34:35], v[6:7], v[22:23]
	v_fmac_f64_e32 v[22:23], s[16:17], v[6:7]
	v_fma_f64 v[64:65], s[26:27], v[6:7], v[4:5]
	v_fmac_f64_e32 v[4:5], s[20:21], v[6:7]
	v_add_f64 v[10:11], v[0:1], v[10:11]
	v_add_f64 v[8:9], v[0:1], v[8:9]
	v_add_f64 v[16:17], v[0:1], v[16:17]
	v_add_f64 v[12:13], v[0:1], v[12:13]
	v_add_f64 v[20:21], v[0:1], v[20:21]
	v_add_f64 v[18:19], v[0:1], v[18:19]
	v_add_f64 v[24:25], v[0:1], v[24:25]
	v_add_f64 v[22:23], v[0:1], v[22:23]
	v_add_f64 v[64:65], v[0:1], v[64:65]
	v_add_f64 v[0:1], v[0:1], v[4:5]
	v_add_f64 v[4:5], v[84:85], v[14:15]
	v_add_f64 v[6:7], v[114:115], -v[98:99]
	v_mul_f64 v[14:15], v[4:5], s[12:13]
	v_fma_f64 v[68:69], s[30:31], v[6:7], v[14:15]
	v_fmac_f64_e32 v[14:15], s[6:7], v[6:7]
	v_add_f64 v[8:9], v[14:15], v[8:9]
	v_mul_f64 v[14:15], v[4:5], s[18:19]
	v_add_f64 v[10:11], v[68:69], v[10:11]
	v_fma_f64 v[68:69], s[34:35], v[6:7], v[14:15]
	v_fmac_f64_e32 v[14:15], s[16:17], v[6:7]
	v_add_f64 v[12:13], v[14:15], v[12:13]
	v_mul_f64 v[14:15], v[4:5], s[22:23]
	v_add_f64 v[16:17], v[68:69], v[16:17]
	;; [unrolled: 5-line block ×3, first 2 shown]
	v_fma_f64 v[68:69], s[10:11], v[6:7], v[18:19]
	v_fmac_f64_e32 v[18:19], s[24:25], v[6:7]
	v_mul_f64 v[4:5], v[4:5], s[8:9]
	v_add_f64 v[18:19], v[18:19], v[22:23]
	v_fma_f64 v[22:23], s[2:3], v[6:7], v[4:5]
	v_fmac_f64_e32 v[4:5], s[28:29], v[6:7]
	v_add_f64 v[0:1], v[4:5], v[0:1]
	v_add_f64 v[4:5], v[78:79], v[72:73]
	v_add_f64 v[6:7], v[26:27], -v[96:97]
	v_mul_f64 v[26:27], v[4:5], s[14:15]
	v_add_f64 v[22:23], v[22:23], v[64:65]
	v_fma_f64 v[64:65], s[24:25], v[6:7], v[26:27]
	v_fmac_f64_e32 v[26:27], s[10:11], v[6:7]
	v_add_f64 v[8:9], v[26:27], v[8:9]
	v_mul_f64 v[26:27], v[4:5], s[22:23]
	v_add_f64 v[10:11], v[64:65], v[10:11]
	v_fma_f64 v[64:65], s[20:21], v[6:7], v[26:27]
	v_fmac_f64_e32 v[26:27], s[26:27], v[6:7]
	v_add_f64 v[12:13], v[26:27], v[12:13]
	;; [unrolled: 5-line block ×3, first 2 shown]
	v_mul_f64 v[26:27], v[4:5], s[8:9]
	v_add_f64 v[20:21], v[64:65], v[20:21]
	v_fma_f64 v[64:65], s[28:29], v[6:7], v[26:27]
	v_fmac_f64_e32 v[26:27], s[2:3], v[6:7]
	v_mul_f64 v[4:5], v[4:5], s[18:19]
	v_add_f64 v[18:19], v[26:27], v[18:19]
	v_fma_f64 v[26:27], s[34:35], v[6:7], v[4:5]
	v_fmac_f64_e32 v[4:5], s[16:17], v[6:7]
	v_add_f64 v[0:1], v[4:5], v[0:1]
	v_add_f64 v[4:5], v[86:87], v[92:93]
	;; [unrolled: 1-line block ×4, first 2 shown]
	v_add_f64 v[6:7], v[106:107], -v[88:89]
	v_mul_f64 v[26:27], v[4:5], s[18:19]
	v_add_f64 v[24:25], v[64:65], v[24:25]
	v_fma_f64 v[64:65], s[34:35], v[6:7], v[26:27]
	v_fmac_f64_e32 v[26:27], s[16:17], v[6:7]
	v_add_f64 v[8:9], v[26:27], v[8:9]
	v_mul_f64 v[26:27], v[4:5], s[14:15]
	v_add_f64 v[10:11], v[64:65], v[10:11]
	v_fma_f64 v[64:65], s[10:11], v[6:7], v[26:27]
	v_fmac_f64_e32 v[26:27], s[24:25], v[6:7]
	v_add_f64 v[12:13], v[26:27], v[12:13]
	;; [unrolled: 5-line block ×3, first 2 shown]
	v_mul_f64 v[26:27], v[4:5], s[22:23]
	v_add_f64 v[20:21], v[64:65], v[20:21]
	v_fma_f64 v[64:65], s[26:27], v[6:7], v[26:27]
	v_fmac_f64_e32 v[26:27], s[20:21], v[6:7]
	v_mul_f64 v[4:5], v[4:5], s[12:13]
	v_add_f64 v[18:19], v[26:27], v[18:19]
	v_fma_f64 v[26:27], s[6:7], v[6:7], v[4:5]
	v_fmac_f64_e32 v[4:5], s[30:31], v[6:7]
	v_add_f64 v[0:1], v[4:5], v[0:1]
	v_add_f64 v[4:5], v[74:75], v[76:77]
	;; [unrolled: 1-line block ×3, first 2 shown]
	v_add_f64 v[6:7], v[80:81], -v[82:83]
	v_mul_f64 v[26:27], v[4:5], s[22:23]
	v_add_f64 v[24:25], v[64:65], v[24:25]
	v_fma_f64 v[64:65], s[26:27], v[6:7], v[26:27]
	v_fmac_f64_e32 v[26:27], s[20:21], v[6:7]
	v_add_f64 v[78:79], v[26:27], v[8:9]
	v_mul_f64 v[8:9], v[4:5], s[8:9]
	v_add_f64 v[76:77], v[64:65], v[10:11]
	v_fma_f64 v[10:11], s[2:3], v[6:7], v[8:9]
	v_fmac_f64_e32 v[8:9], s[28:29], v[6:7]
	v_add_f64 v[82:83], v[8:9], v[12:13]
	;; [unrolled: 5-line block ×3, first 2 shown]
	v_mul_f64 v[8:9], v[4:5], s[12:13]
	v_add_f64 v[84:85], v[10:11], v[20:21]
	v_fma_f64 v[10:11], s[6:7], v[6:7], v[8:9]
	v_fmac_f64_e32 v[8:9], s[30:31], v[6:7]
	v_mul_f64 v[4:5], v[4:5], s[14:15]
	v_add_f64 v[92:93], v[8:9], v[18:19]
	v_fma_f64 v[8:9], s[24:25], v[6:7], v[4:5]
	v_fmac_f64_e32 v[4:5], s[10:11], v[6:7]
	v_add_u32_e32 v68, 0x400, v139
	v_add_u32_e32 v69, 0x800, v139
	;; [unrolled: 1-line block ×5, first 2 shown]
	v_add_f64 v[88:89], v[10:11], v[24:25]
	v_add_f64 v[96:97], v[8:9], v[22:23]
	;; [unrolled: 1-line block ×3, first 2 shown]
	s_waitcnt lgkmcnt(0)
	s_barrier
	ds_read2_b64 v[4:7], v139 offset0:77 offset1:154
	ds_read2_b64 v[8:11], v68 offset0:103 offset1:180
	;; [unrolled: 1-line block ×6, first 2 shown]
	ds_read_b64 v[0:1], v127
	ds_read_b64 v[64:65], v139 offset:8008
	s_waitcnt lgkmcnt(0)
	s_barrier
	ds_write2_b64 v91, v[94:95], v[76:77] offset1:2
	ds_write2_b64 v91, v[80:81], v[84:85] offset0:4 offset1:6
	ds_write2_b64 v91, v[88:89], v[96:97] offset0:8 offset1:10
	;; [unrolled: 1-line block ×4, first 2 shown]
	ds_write_b64 v91, v[78:79] offset:160
	s_and_saveexec_b64 s[2:3], vcc
	s_cbranch_execz .LBB0_18
; %bb.17:
	v_add_f64 v[76:77], v[2:3], v[60:61]
	v_add_f64 v[76:77], v[76:77], v[58:59]
	;; [unrolled: 1-line block ×8, first 2 shown]
	s_mov_b32 s6, 0x8764f0ba
	s_mov_b32 s10, 0xd9c712b6
	;; [unrolled: 1-line block ×5, first 2 shown]
	v_add_f64 v[76:77], v[76:77], v[44:45]
	v_add_f64 v[60:61], v[60:61], v[62:63]
	s_mov_b32 s7, 0x3feaeb8c
	s_mov_b32 s8, 0xf8bb580b
	s_mov_b32 s11, 0x3fda9628
	s_mov_b32 s12, 0x8eee2c13
	s_mov_b32 s19, 0xbfc2375f
	s_mov_b32 s20, 0x43842ef
	s_mov_b32 s25, 0xbfe4f49e
	s_mov_b32 s34, 0xbb3a28a1
	s_mov_b32 s29, 0xbfeeb42a
	s_mov_b32 s30, 0xfd768dbf
	v_add_f64 v[76:77], v[76:77], v[62:63]
	v_add_f64 v[56:57], v[70:71], -v[56:57]
	v_mul_f64 v[62:63], v[60:61], s[6:7]
	s_mov_b32 s9, 0x3fe14ced
	s_mov_b32 s15, 0xbfe14ced
	s_mov_b32 s14, s8
	v_mul_f64 v[78:79], v[60:61], s[10:11]
	s_mov_b32 s13, 0x3fed1bb4
	s_mov_b32 s17, 0xbfed1bb4
	s_mov_b32 s16, s12
	;; [unrolled: 4-line block ×3, first 2 shown]
	v_mul_f64 v[86:87], v[60:61], s[24:25]
	s_mov_b32 s27, 0xbfe82f19
	s_mov_b32 s26, s34
	v_mul_f64 v[60:61], v[60:61], s[28:29]
	s_mov_b32 s31, 0x3fd207e7
	s_mov_b32 s37, 0xbfd207e7
	;; [unrolled: 1-line block ×3, first 2 shown]
	v_add_f64 v[44:45], v[58:59], v[44:45]
	v_fma_f64 v[70:71], s[8:9], v[56:57], v[62:63]
	v_fmac_f64_e32 v[62:63], s[14:15], v[56:57]
	v_fma_f64 v[80:81], s[12:13], v[56:57], v[78:79]
	v_fmac_f64_e32 v[78:79], s[16:17], v[56:57]
	;; [unrolled: 2-line block ×5, first 2 shown]
	v_add_f64 v[54:55], v[66:67], -v[54:55]
	v_mul_f64 v[56:57], v[44:45], s[10:11]
	v_add_f64 v[70:71], v[2:3], v[70:71]
	v_add_f64 v[62:63], v[2:3], v[62:63]
	;; [unrolled: 1-line block ×10, first 2 shown]
	v_fma_f64 v[58:59], s[12:13], v[54:55], v[56:57]
	v_fmac_f64_e32 v[56:57], s[16:17], v[54:55]
	v_mul_f64 v[60:61], v[44:45], s[24:25]
	v_add_f64 v[56:57], v[56:57], v[62:63]
	v_fma_f64 v[62:63], s[34:35], v[54:55], v[60:61]
	v_fmac_f64_e32 v[60:61], s[26:27], v[54:55]
	v_mul_f64 v[66:67], v[44:45], s[28:29]
	v_add_f64 v[58:59], v[58:59], v[70:71]
	v_add_f64 v[60:61], v[60:61], v[78:79]
	v_fma_f64 v[70:71], s[36:37], v[54:55], v[66:67]
	v_fmac_f64_e32 v[66:67], s[30:31], v[54:55]
	v_mul_f64 v[78:79], v[44:45], s[18:19]
	v_mul_f64 v[44:45], v[44:45], s[6:7]
	v_add_f64 v[66:67], v[66:67], v[82:83]
	v_fma_f64 v[82:83], s[14:15], v[54:55], v[44:45]
	v_fmac_f64_e32 v[44:45], s[8:9], v[54:55]
	v_add_f64 v[42:43], v[50:51], v[42:43]
	v_add_f64 v[2:3], v[44:45], v[2:3]
	v_add_f64 v[44:45], v[48:49], -v[52:53]
	v_mul_f64 v[48:49], v[42:43], s[18:19]
	v_fma_f64 v[50:51], s[20:21], v[44:45], v[48:49]
	v_fmac_f64_e32 v[48:49], s[22:23], v[44:45]
	v_mul_f64 v[52:53], v[42:43], s[28:29]
	v_add_f64 v[62:63], v[62:63], v[80:81]
	v_fma_f64 v[80:81], s[22:23], v[54:55], v[78:79]
	v_fmac_f64_e32 v[78:79], s[20:21], v[54:55]
	v_add_f64 v[48:49], v[48:49], v[56:57]
	v_fma_f64 v[54:55], s[36:37], v[44:45], v[52:53]
	v_fmac_f64_e32 v[52:53], s[30:31], v[44:45]
	v_mul_f64 v[56:57], v[42:43], s[10:11]
	v_add_f64 v[50:51], v[50:51], v[58:59]
	v_add_f64 v[52:53], v[52:53], v[60:61]
	v_fma_f64 v[58:59], s[16:17], v[44:45], v[56:57]
	v_fmac_f64_e32 v[56:57], s[12:13], v[44:45]
	v_mul_f64 v[60:61], v[42:43], s[6:7]
	v_mul_f64 v[42:43], v[42:43], s[24:25]
	v_add_f64 v[38:39], v[38:39], v[46:47]
	v_add_f64 v[56:57], v[56:57], v[66:67]
	v_fma_f64 v[66:67], s[34:35], v[44:45], v[42:43]
	v_fmac_f64_e32 v[42:43], s[26:27], v[44:45]
	v_add_f64 v[36:37], v[36:37], -v[40:41]
	v_mul_f64 v[40:41], v[38:39], s[24:25]
	v_add_f64 v[54:55], v[54:55], v[62:63]
	v_fma_f64 v[62:63], s[8:9], v[44:45], v[60:61]
	v_fmac_f64_e32 v[60:61], s[14:15], v[44:45]
	v_add_f64 v[2:3], v[42:43], v[2:3]
	v_fma_f64 v[42:43], s[34:35], v[36:37], v[40:41]
	v_fmac_f64_e32 v[40:41], s[26:27], v[36:37]
	v_mul_f64 v[44:45], v[38:39], s[18:19]
	v_add_f64 v[40:41], v[40:41], v[48:49]
	v_fma_f64 v[46:47], s[22:23], v[36:37], v[44:45]
	v_fmac_f64_e32 v[44:45], s[20:21], v[36:37]
	v_mul_f64 v[48:49], v[38:39], s[6:7]
	v_add_f64 v[28:29], v[28:29], v[34:35]
	v_add_f64 v[42:43], v[42:43], v[50:51]
	;; [unrolled: 1-line block ×3, first 2 shown]
	v_fma_f64 v[50:51], s[8:9], v[36:37], v[48:49]
	v_fmac_f64_e32 v[48:49], s[14:15], v[36:37]
	v_mul_f64 v[52:53], v[38:39], s[28:29]
	v_mul_f64 v[38:39], v[38:39], s[10:11]
	v_add_f64 v[30:31], v[30:31], -v[32:33]
	v_mul_f64 v[32:33], v[28:29], s[28:29]
	v_add_f64 v[46:47], v[46:47], v[54:55]
	v_add_f64 v[48:49], v[48:49], v[56:57]
	v_fma_f64 v[54:55], s[30:31], v[36:37], v[52:53]
	v_fmac_f64_e32 v[52:53], s[36:37], v[36:37]
	v_fma_f64 v[56:57], s[16:17], v[36:37], v[38:39]
	v_fmac_f64_e32 v[38:39], s[12:13], v[36:37]
	;; [unrolled: 2-line block ×3, first 2 shown]
	v_mul_f64 v[36:37], v[28:29], s[6:7]
	v_add_f64 v[2:3], v[38:39], v[2:3]
	v_add_f64 v[32:33], v[32:33], v[40:41]
	v_fma_f64 v[38:39], s[14:15], v[30:31], v[36:37]
	v_fmac_f64_e32 v[36:37], s[8:9], v[30:31]
	v_mul_f64 v[40:41], v[28:29], s[24:25]
	v_add_f64 v[34:35], v[34:35], v[42:43]
	v_add_f64 v[36:37], v[36:37], v[44:45]
	v_fma_f64 v[42:43], s[34:35], v[30:31], v[40:41]
	v_fmac_f64_e32 v[40:41], s[26:27], v[30:31]
	v_mul_f64 v[44:45], v[28:29], s[10:11]
	v_mul_f64 v[28:29], v[28:29], s[18:19]
	v_add_f64 v[40:41], v[40:41], v[48:49]
	v_fma_f64 v[48:49], s[20:21], v[30:31], v[28:29]
	v_fmac_f64_e32 v[28:29], s[22:23], v[30:31]
	v_add_f64 v[2:3], v[28:29], v[2:3]
	v_mul_u32_u24_e32 v28, 22, v90
	v_add_f64 v[70:71], v[70:71], v[84:85]
	v_add_f64 v[80:81], v[80:81], v[88:89]
	;; [unrolled: 1-line block ×4, first 2 shown]
	v_or_b32_e32 v28, v28, v141
	v_add_f64 v[58:59], v[58:59], v[70:71]
	v_add_f64 v[62:63], v[62:63], v[80:81]
	;; [unrolled: 1-line block ×4, first 2 shown]
	v_lshlrev_b32_e32 v28, 3, v28
	v_add_f64 v[50:51], v[50:51], v[58:59]
	v_add_f64 v[54:55], v[54:55], v[62:63]
	;; [unrolled: 1-line block ×5, first 2 shown]
	v_fma_f64 v[46:47], s[16:17], v[30:31], v[44:45]
	v_fmac_f64_e32 v[44:45], s[12:13], v[30:31]
	v_add3_u32 v28, 0, v28, v140
	v_add_f64 v[42:43], v[42:43], v[50:51]
	v_add_f64 v[46:47], v[46:47], v[54:55]
	;; [unrolled: 1-line block ×4, first 2 shown]
	ds_write2_b64 v28, v[76:77], v[34:35] offset1:2
	ds_write2_b64 v28, v[38:39], v[42:43] offset0:4 offset1:6
	ds_write2_b64 v28, v[46:47], v[48:49] offset0:8 offset1:10
	ds_write2_b64 v28, v[2:3], v[44:45] offset0:12 offset1:14
	ds_write2_b64 v28, v[40:41], v[36:37] offset0:16 offset1:18
	ds_write_b64 v28, v[32:33] offset:160
.LBB0_18:
	s_or_b64 exec, exec, s[2:3]
	v_lshrrev_b16_e32 v2, 1, v126
	v_and_b32_e32 v2, 0x7f, v2
	v_mul_lo_u16_e32 v2, 0xbb, v2
	v_lshrrev_b16_e32 v75, 11, v2
	v_mul_lo_u16_e32 v2, 22, v75
	v_sub_u16_e32 v136, v126, v2
	v_mov_b32_e32 v2, 6
	v_mul_u32_u24_sdwa v3, v136, v2 dst_sel:DWORD dst_unused:UNUSED_PAD src0_sel:BYTE_0 src1_sel:DWORD
	v_lshlrev_b32_e32 v3, 4, v3
	s_waitcnt lgkmcnt(0)
	s_barrier
	global_load_dwordx4 v[28:31], v3, s[4:5] offset:336
	global_load_dwordx4 v[32:35], v3, s[4:5] offset:320
	;; [unrolled: 1-line block ×6, first 2 shown]
	v_lshrrev_b16_e32 v3, 1, v138
	v_and_b32_e32 v3, 0x7f, v3
	v_mul_lo_u16_e32 v3, 0xbb, v3
	v_lshrrev_b16_e32 v137, 11, v3
	v_mul_lo_u16_e32 v3, 22, v137
	v_sub_u16_e32 v141, v138, v3
	v_mul_u32_u24_sdwa v2, v141, v2 dst_sel:DWORD dst_unused:UNUSED_PAD src0_sel:BYTE_0 src1_sel:DWORD
	v_lshlrev_b32_e32 v2, 4, v2
	global_load_dwordx4 v[52:55], v2, s[4:5] offset:320
	global_load_dwordx4 v[56:59], v2, s[4:5] offset:336
	;; [unrolled: 1-line block ×6, first 2 shown]
	ds_read2_b64 v[88:91], v139 offset0:77 offset1:154
	ds_read2_b64 v[92:95], v68 offset0:103 offset1:180
	;; [unrolled: 1-line block ×6, first 2 shown]
	ds_read_b64 v[2:3], v127
	ds_read_b64 v[66:67], v139 offset:8008
	s_mov_b32 s10, 0x37e14327
	s_mov_b32 s12, 0x36b3c0b5
	;; [unrolled: 1-line block ×20, first 2 shown]
	s_movk_i32 s24, 0x4d0
	s_waitcnt lgkmcnt(0)
	s_barrier
	s_waitcnt vmcnt(11)
	v_mul_f64 v[112:113], v[94:95], v[30:31]
	s_waitcnt vmcnt(10)
	v_mul_f64 v[70:71], v[90:91], v[34:35]
	v_mul_f64 v[34:35], v[6:7], v[34:35]
	;; [unrolled: 1-line block ×3, first 2 shown]
	s_waitcnt vmcnt(7)
	v_mul_f64 v[120:121], v[110:111], v[46:47]
	s_waitcnt vmcnt(6)
	v_mul_f64 v[118:119], v[106:107], v[50:51]
	v_mul_f64 v[50:51], v[22:23], v[50:51]
	v_mul_f64 v[46:47], v[26:27], v[46:47]
	v_mul_f64 v[114:115], v[98:99], v[42:43]
	v_mul_f64 v[42:43], v[14:15], v[42:43]
	v_mul_f64 v[116:117], v[102:103], v[38:39]
	v_mul_f64 v[38:39], v[18:19], v[38:39]
	v_fmac_f64_e32 v[70:71], v[6:7], v[32:33]
	v_fma_f64 v[6:7], v[90:91], v[32:33], -v[34:35]
	s_waitcnt vmcnt(0)
	v_mul_f64 v[34:35], v[64:65], v[86:87]
	v_fmac_f64_e32 v[112:113], v[10:11], v[28:29]
	v_fma_f64 v[10:11], v[94:95], v[28:29], -v[30:31]
	v_fmac_f64_e32 v[118:119], v[22:23], v[48:49]
	v_fma_f64 v[22:23], v[106:107], v[48:49], -v[50:51]
	v_fmac_f64_e32 v[120:121], v[26:27], v[44:45]
	v_fma_f64 v[26:27], v[110:111], v[44:45], -v[46:47]
	v_fmac_f64_e32 v[114:115], v[14:15], v[40:41]
	v_fma_f64 v[14:15], v[98:99], v[40:41], -v[42:43]
	v_fmac_f64_e32 v[116:117], v[18:19], v[36:37]
	v_fma_f64 v[18:19], v[102:103], v[36:37], -v[38:39]
	v_fma_f64 v[28:29], v[66:67], v[84:85], -v[34:35]
	v_add_f64 v[30:31], v[70:71], v[120:121]
	v_add_f64 v[34:35], v[6:7], v[26:27]
	v_add_f64 v[6:7], v[6:7], -v[26:27]
	v_add_f64 v[26:27], v[112:113], v[118:119]
	v_add_f64 v[38:39], v[10:11], v[22:23]
	v_mul_f64 v[122:123], v[92:93], v[54:55]
	v_mul_f64 v[54:55], v[8:9], v[54:55]
	;; [unrolled: 1-line block ×4, first 2 shown]
	v_add_f64 v[36:37], v[70:71], -v[120:121]
	v_add_f64 v[40:41], v[112:113], -v[118:119]
	;; [unrolled: 1-line block ×3, first 2 shown]
	v_add_f64 v[22:23], v[114:115], v[116:117]
	v_add_f64 v[42:43], v[14:15], v[18:19]
	v_add_f64 v[44:45], v[116:117], -v[114:115]
	v_add_f64 v[14:15], v[18:19], -v[14:15]
	v_add_f64 v[18:19], v[26:27], v[30:31]
	v_add_f64 v[46:47], v[38:39], v[34:35]
	v_fmac_f64_e32 v[122:123], v[8:9], v[52:53]
	v_fma_f64 v[8:9], v[92:93], v[52:53], -v[54:55]
	v_fmac_f64_e32 v[124:125], v[12:13], v[56:57]
	v_fma_f64 v[12:13], v[96:97], v[56:57], -v[58:59]
	v_add_f64 v[48:49], v[26:27], -v[30:31]
	v_add_f64 v[50:51], v[38:39], -v[34:35]
	v_add_f64 v[30:31], v[30:31], -v[22:23]
	v_add_f64 v[34:35], v[34:35], -v[42:43]
	v_add_f64 v[26:27], v[22:23], -v[26:27]
	v_add_f64 v[38:39], v[42:43], -v[38:39]
	v_add_f64 v[52:53], v[44:45], v[40:41]
	v_add_f64 v[54:55], v[14:15], v[10:11]
	v_add_f64 v[56:57], v[44:45], -v[40:41]
	v_add_f64 v[58:59], v[14:15], -v[10:11]
	;; [unrolled: 1-line block ×4, first 2 shown]
	v_add_f64 v[18:19], v[22:23], v[18:19]
	v_add_f64 v[22:23], v[42:43], v[46:47]
	v_add_f64 v[44:45], v[36:37], -v[44:45]
	v_add_f64 v[14:15], v[6:7], -v[14:15]
	v_add_f64 v[36:37], v[52:53], v[36:37]
	v_add_f64 v[6:7], v[54:55], v[6:7]
	;; [unrolled: 1-line block ×4, first 2 shown]
	v_mul_f64 v[2:3], v[30:31], s[10:11]
	v_mul_f64 v[30:31], v[34:35], s[10:11]
	;; [unrolled: 1-line block ×10, first 2 shown]
	v_fma_f64 v[18:19], s[18:19], v[18:19], v[0:1]
	v_fma_f64 v[22:23], s[18:19], v[22:23], v[42:43]
	v_fma_f64 v[34:35], v[48:49], s[6:7], -v[34:35]
	v_fma_f64 v[46:47], v[50:51], s[6:7], -v[46:47]
	;; [unrolled: 1-line block ×3, first 2 shown]
	v_fmac_f64_e32 v[2:3], s[12:13], v[26:27]
	v_fma_f64 v[26:27], v[50:51], s[14:15], -v[30:31]
	v_fmac_f64_e32 v[30:31], s[12:13], v[38:39]
	v_fma_f64 v[38:39], v[40:41], s[2:3], -v[52:53]
	v_fma_f64 v[10:11], v[10:11], s[2:3], -v[54:55]
	v_fmac_f64_e32 v[54:55], s[22:23], v[14:15]
	v_fma_f64 v[40:41], v[44:45], s[20:21], -v[56:57]
	v_fma_f64 v[14:15], v[14:15], s[20:21], -v[58:59]
	v_mul_f64 v[130:131], v[100:101], v[62:63]
	v_mul_f64 v[62:63], v[16:17], v[62:63]
	;; [unrolled: 1-line block ×5, first 2 shown]
	v_fmac_f64_e32 v[134:135], v[24:25], v[80:81]
	v_fmac_f64_e32 v[32:33], v[64:65], v[84:85]
	;; [unrolled: 1-line block ×3, first 2 shown]
	v_add_f64 v[2:3], v[2:3], v[18:19]
	v_add_f64 v[30:31], v[30:31], v[22:23]
	;; [unrolled: 1-line block ×6, first 2 shown]
	v_fmac_f64_e32 v[38:39], s[16:17], v[36:37]
	v_fmac_f64_e32 v[10:11], s[16:17], v[6:7]
	;; [unrolled: 1-line block ×5, first 2 shown]
	v_fma_f64 v[16:17], v[100:101], v[60:61], -v[62:63]
	v_fmac_f64_e32 v[132:133], v[20:21], v[76:77]
	v_fma_f64 v[20:21], v[104:105], v[76:77], -v[78:79]
	v_fma_f64 v[24:25], v[108:109], v[80:81], -v[82:83]
	v_fmac_f64_e32 v[52:53], s[16:17], v[36:37]
	v_fmac_f64_e32 v[54:55], s[16:17], v[6:7]
	v_add_f64 v[36:37], v[14:15], v[18:19]
	v_add_f64 v[46:47], v[22:23], -v[40:41]
	v_add_f64 v[48:49], v[34:35], -v[10:11]
	v_add_f64 v[50:51], v[38:39], v[44:45]
	v_add_f64 v[10:11], v[10:11], v[34:35]
	v_add_f64 v[34:35], v[44:45], -v[38:39]
	v_add_f64 v[14:15], v[18:19], -v[14:15]
	v_add_f64 v[38:39], v[40:41], v[22:23]
	v_add_f64 v[18:19], v[122:123], v[32:33]
	;; [unrolled: 1-line block ×3, first 2 shown]
	v_add_f64 v[8:9], v[8:9], -v[28:29]
	v_add_f64 v[28:29], v[124:125], v[134:135]
	v_add_f64 v[6:7], v[54:55], v[2:3]
	v_add_f64 v[26:27], v[30:31], -v[52:53]
	v_add_f64 v[2:3], v[2:3], -v[54:55]
	v_add_f64 v[30:31], v[52:53], v[30:31]
	v_add_f64 v[40:41], v[12:13], v[24:25]
	v_add_f64 v[44:45], v[124:125], -v[134:135]
	;; [unrolled: 4-line block ×3, first 2 shown]
	v_add_f64 v[16:17], v[20:21], -v[16:17]
	v_add_f64 v[20:21], v[28:29], v[18:19]
	v_add_f64 v[32:33], v[122:123], -v[32:33]
	v_add_f64 v[56:57], v[40:41], v[22:23]
	v_add_f64 v[58:59], v[28:29], -v[18:19]
	v_add_f64 v[18:19], v[18:19], -v[24:25]
	v_add_f64 v[28:29], v[24:25], -v[28:29]
	v_add_f64 v[64:65], v[16:17], v[12:13]
	v_add_f64 v[66:67], v[54:55], -v[44:45]
	v_add_f64 v[70:71], v[16:17], -v[12:13]
	;; [unrolled: 4-line block ×4, first 2 shown]
	v_add_f64 v[24:25], v[52:53], v[56:57]
	v_add_f64 v[8:9], v[64:65], v[8:9]
	;; [unrolled: 1-line block ×3, first 2 shown]
	v_mul_f64 v[18:19], v[18:19], s[10:11]
	v_mul_f64 v[52:53], v[28:29], s[12:13]
	;; [unrolled: 1-line block ×5, first 2 shown]
	v_add_f64 v[54:55], v[32:33], -v[54:55]
	v_add_f64 v[32:33], v[62:63], v[32:33]
	v_add_f64 v[56:57], v[88:89], v[24:25]
	v_mul_f64 v[22:23], v[22:23], s[10:11]
	v_mul_f64 v[62:63], v[40:41], s[12:13]
	;; [unrolled: 1-line block ×3, first 2 shown]
	v_fma_f64 v[20:21], s[18:19], v[20:21], v[4:5]
	v_fma_f64 v[52:53], v[58:59], s[6:7], -v[52:53]
	v_fma_f64 v[58:59], v[58:59], s[14:15], -v[18:19]
	v_fmac_f64_e32 v[18:19], s[12:13], v[28:29]
	v_fma_f64 v[12:13], v[12:13], s[2:3], -v[66:67]
	v_fmac_f64_e32 v[66:67], s[22:23], v[16:17]
	v_fma_f64 v[16:17], v[16:17], s[20:21], -v[76:77]
	v_fma_f64 v[24:25], s[18:19], v[24:25], v[56:57]
	v_fma_f64 v[62:63], v[60:61], s[6:7], -v[62:63]
	v_fma_f64 v[28:29], v[60:61], s[14:15], -v[22:23]
	v_fmac_f64_e32 v[22:23], s[12:13], v[40:41]
	v_fma_f64 v[40:41], v[44:45], s[2:3], -v[64:65]
	v_fmac_f64_e32 v[64:65], s[22:23], v[54:55]
	v_fma_f64 v[44:45], v[54:55], s[20:21], -v[70:71]
	v_add_f64 v[18:19], v[18:19], v[20:21]
	v_add_f64 v[52:53], v[52:53], v[20:21]
	;; [unrolled: 1-line block ×3, first 2 shown]
	v_fmac_f64_e32 v[16:17], s[16:17], v[8:9]
	v_add_f64 v[22:23], v[22:23], v[24:25]
	v_add_f64 v[54:55], v[62:63], v[24:25]
	;; [unrolled: 1-line block ×3, first 2 shown]
	v_fmac_f64_e32 v[64:65], s[16:17], v[32:33]
	v_fmac_f64_e32 v[40:41], s[16:17], v[32:33]
	;; [unrolled: 1-line block ×3, first 2 shown]
	v_add_f64 v[32:33], v[16:17], v[20:21]
	v_add_f64 v[16:17], v[20:21], -v[16:17]
	v_mov_b32_e32 v21, 3
	v_add_f64 v[28:29], v[22:23], -v[64:65]
	v_add_f64 v[58:59], v[24:25], -v[44:45]
	v_add_f64 v[24:25], v[44:45], v[24:25]
	v_add_f64 v[44:45], v[64:65], v[22:23]
	v_mad_u32_u24 v20, v75, s24, 0
	v_lshlrev_b32_sdwa v22, v21, v136 dst_sel:DWORD dst_unused:UNUSED_PAD src0_sel:DWORD src1_sel:BYTE_0
	v_add3_u32 v64, v20, v22, v140
	v_fmac_f64_e32 v[66:67], s[16:17], v[8:9]
	v_fmac_f64_e32 v[12:13], s[16:17], v[8:9]
	ds_write2_b64 v64, v[0:1], v[6:7] offset1:22
	ds_write2_b64 v64, v[36:37], v[48:49] offset0:44 offset1:66
	ds_write2_b64 v64, v[10:11], v[14:15] offset0:88 offset1:110
	ds_write_b64 v64, v[2:3] offset:1056
	v_mad_u32_u24 v0, v137, s24, 0
	v_lshlrev_b32_sdwa v1, v21, v141 dst_sel:DWORD dst_unused:UNUSED_PAD src0_sel:DWORD src1_sel:BYTE_0
	v_add_f64 v[8:9], v[66:67], v[18:19]
	v_add_f64 v[60:61], v[52:53], -v[12:13]
	v_add_f64 v[12:13], v[12:13], v[52:53]
	v_add_f64 v[18:19], v[18:19], -v[66:67]
	v_add3_u32 v36, v0, v1, v140
	v_add_f64 v[62:63], v[40:41], v[54:55]
	v_add_f64 v[40:41], v[54:55], -v[40:41]
	ds_write2_b64 v36, v[4:5], v[8:9] offset1:22
	ds_write2_b64 v36, v[32:33], v[60:61] offset0:44 offset1:66
	ds_write2_b64 v36, v[12:13], v[16:17] offset0:88 offset1:110
	ds_write_b64 v36, v[18:19] offset:1056
	s_waitcnt lgkmcnt(0)
	s_barrier
	ds_read2_b64 v[0:3], v139 offset0:77 offset1:154
	ds_read2_b64 v[8:11], v68 offset0:103 offset1:180
	ds_read2_b64 v[20:23], v69 offset0:129 offset1:206
	ds_read2_b64 v[16:19], v72 offset0:27 offset1:104
	ds_read2_b64 v[12:15], v73 offset0:53 offset1:130
	ds_read2_b64 v[4:7], v74 offset0:79 offset1:156
	ds_read_b64 v[52:53], v127
	ds_read_b64 v[54:55], v139 offset:8008
	s_waitcnt lgkmcnt(0)
	s_barrier
	ds_write2_b64 v64, v[42:43], v[26:27] offset1:22
	ds_write2_b64 v64, v[46:47], v[50:51] offset0:44 offset1:66
	ds_write2_b64 v64, v[34:35], v[38:39] offset0:88 offset1:110
	ds_write_b64 v64, v[30:31] offset:1056
	ds_write2_b64 v36, v[56:57], v[28:29] offset1:22
	ds_write2_b64 v36, v[58:59], v[62:63] offset0:44 offset1:66
	ds_write2_b64 v36, v[40:41], v[24:25] offset0:88 offset1:110
	ds_write_b64 v36, v[44:45] offset:1056
	s_waitcnt lgkmcnt(0)
	s_barrier
	s_and_saveexec_b64 s[24:25], s[0:1]
	s_cbranch_execz .LBB0_20
; %bb.19:
	v_mul_u32_u24_e32 v24, 6, v138
	v_lshlrev_b32_e32 v28, 4, v24
	global_load_dwordx4 v[24:27], v28, s[4:5] offset:2480
	global_load_dwordx4 v[32:35], v28, s[4:5] offset:2464
	;; [unrolled: 1-line block ×6, first 2 shown]
	v_mul_u32_u24_e32 v76, 6, v126
	v_add_u32_e32 v56, 0x1400, v139
	v_add_u32_e32 v60, 0x1000, v139
	;; [unrolled: 1-line block ×5, first 2 shown]
	v_lshlrev_b32_e32 v104, 4, v76
	ds_read2_b64 v[28:31], v139 offset0:77 offset1:154
	ds_read_b64 v[100:101], v139 offset:8008
	ds_read_b64 v[102:103], v127
	ds_read2_b64 v[56:59], v56 offset0:53 offset1:130
	ds_read2_b64 v[60:63], v60 offset0:27 offset1:104
	;; [unrolled: 1-line block ×5, first 2 shown]
	global_load_dwordx4 v[76:79], v104, s[4:5] offset:2480
	global_load_dwordx4 v[80:83], v104, s[4:5] offset:2464
	;; [unrolled: 1-line block ×6, first 2 shown]
	v_mov_b32_e32 v127, 0
	s_movk_i32 s0, 0x1000
	s_movk_i32 s1, 0x2000
	s_waitcnt vmcnt(11)
	v_mul_f64 v[104:105], v[12:13], v[24:25]
	v_mul_f64 v[12:13], v[12:13], v[26:27]
	s_waitcnt vmcnt(9)
	v_mul_f64 v[108:109], v[20:21], v[36:37]
	s_waitcnt vmcnt(8)
	v_mul_f64 v[110:111], v[4:5], v[48:49]
	s_waitcnt vmcnt(7)
	v_mul_f64 v[112:113], v[8:9], v[40:41]
	s_waitcnt vmcnt(6)
	v_mul_f64 v[114:115], v[54:55], v[44:45]
	v_mul_f64 v[20:21], v[20:21], v[38:39]
	;; [unrolled: 1-line block ×7, first 2 shown]
	s_waitcnt lgkmcnt(2)
	v_fmac_f64_e32 v[108:109], v[64:65], v[38:39]
	s_waitcnt lgkmcnt(1)
	v_fmac_f64_e32 v[110:111], v[68:69], v[50:51]
	;; [unrolled: 2-line block ×3, first 2 shown]
	v_fmac_f64_e32 v[114:115], v[100:101], v[46:47]
	v_fma_f64 v[12:13], v[56:57], v[24:25], -v[12:13]
	v_fma_f64 v[20:21], v[64:65], v[36:37], -v[20:21]
	;; [unrolled: 1-line block ×5, first 2 shown]
	v_fmac_f64_e32 v[104:105], v[56:57], v[26:27]
	v_fmac_f64_e32 v[106:107], v[60:61], v[34:35]
	v_fma_f64 v[16:17], v[60:61], v[32:33], -v[16:17]
	v_add_f64 v[40:41], v[20:21], v[4:5]
	v_add_f64 v[42:43], v[8:9], v[24:25]
	;; [unrolled: 1-line block ×8, first 2 shown]
	v_add_f64 v[26:27], v[104:105], -v[106:107]
	v_add_f64 v[32:33], v[108:109], -v[110:111]
	;; [unrolled: 1-line block ×4, first 2 shown]
	v_add_f64 v[60:61], v[36:37], v[60:61]
	v_add_f64 v[72:73], v[38:39], v[72:73]
	v_add_f64 v[12:13], v[12:13], -v[16:17]
	v_add_f64 v[4:5], v[20:21], -v[4:5]
	;; [unrolled: 1-line block ×3, first 2 shown]
	v_add_f64 v[48:49], v[26:27], v[32:33]
	v_add_f64 v[50:51], v[26:27], -v[32:33]
	v_add_f64 v[54:55], v[34:35], -v[26:27]
	;; [unrolled: 1-line block ×5, first 2 shown]
	v_mul_f64 v[68:69], v[68:69], s[10:11]
	v_add_f64 v[38:39], v[28:29], v[60:61]
	v_add_f64 v[36:37], v[0:1], v[72:73]
	v_add_f64 v[16:17], v[12:13], v[4:5]
	v_add_f64 v[20:21], v[12:13], -v[4:5]
	v_add_f64 v[108:109], v[32:33], -v[34:35]
	;; [unrolled: 1-line block ×3, first 2 shown]
	v_mul_f64 v[50:51], v[50:51], s[8:9]
	v_mul_f64 v[100:101], v[26:27], s[12:13]
	;; [unrolled: 1-line block ×4, first 2 shown]
	v_fma_f64 v[28:29], s[12:13], v[64:65], v[68:69]
	v_mov_b64_e32 v[0:1], v[38:39]
	v_mov_b64_e32 v[64:65], v[36:37]
	v_add_f64 v[16:17], v[16:17], v[8:9]
	v_mul_f64 v[20:21], v[20:21], s[8:9]
	v_add_f64 v[12:13], v[8:9], -v[12:13]
	v_mul_f64 v[32:33], v[108:109], s[2:3]
	v_add_f64 v[40:41], v[40:41], -v[42:43]
	v_mul_f64 v[8:9], v[4:5], s[2:3]
	v_fma_f64 v[106:107], s[22:23], v[54:55], v[50:51]
	v_fma_f64 v[26:27], s[12:13], v[26:27], v[56:57]
	v_fmac_f64_e32 v[0:1], s[18:19], v[60:61]
	v_fmac_f64_e32 v[64:65], s[18:19], v[72:73]
	v_fma_f64 v[72:73], s[22:23], v[12:13], v[20:21]
	v_fma_f64 v[54:55], v[54:55], s[20:21], -v[32:33]
	v_fma_f64 v[32:33], v[40:41], s[14:15], -v[56:57]
	v_add_f64 v[44:45], v[44:45], -v[46:47]
	v_fma_f64 v[8:9], v[12:13], s[20:21], -v[8:9]
	v_fma_f64 v[12:13], v[40:41], s[6:7], -v[100:101]
	;; [unrolled: 1-line block ×3, first 2 shown]
	v_add_f64 v[48:49], v[48:49], v[34:35]
	v_add_f64 v[60:61], v[26:27], v[0:1]
	v_fmac_f64_e32 v[72:73], s[16:17], v[16:17]
	v_add_f64 v[56:57], v[32:33], v[0:1]
	v_fmac_f64_e32 v[8:9], s[16:17], v[16:17]
	v_add_f64 v[0:1], v[12:13], v[0:1]
	v_fma_f64 v[12:13], v[108:109], s[2:3], -v[50:51]
	v_fmac_f64_e32 v[4:5], s[16:17], v[16:17]
	v_fma_f64 v[16:17], v[44:45], s[6:7], -v[104:105]
	v_fmac_f64_e32 v[106:107], s[16:17], v[48:49]
	v_fmac_f64_e32 v[54:55], s[16:17], v[48:49]
	v_fma_f64 v[32:33], v[44:45], s[14:15], -v[68:69]
	v_fmac_f64_e32 v[12:13], s[16:17], v[48:49]
	v_add_f64 v[16:17], v[16:17], v[64:65]
	v_add_f64 v[26:27], v[106:107], v[60:61]
	;; [unrolled: 1-line block ×5, first 2 shown]
	v_add_f64 v[42:43], v[0:1], -v[12:13]
	v_add_f64 v[40:41], v[4:5], v[16:17]
	v_add_f64 v[46:47], v[12:13], v[0:1]
	v_add_f64 v[44:45], v[16:17], -v[4:5]
	v_add_f64 v[50:51], v[56:57], -v[54:55]
	;; [unrolled: 1-line block ×3, first 2 shown]
	s_waitcnt vmcnt(3)
	v_mul_f64 v[12:13], v[10:11], v[84:85]
	s_waitcnt vmcnt(0)
	v_mul_f64 v[16:17], v[14:15], v[96:97]
	v_mul_f64 v[60:61], v[2:3], v[88:89]
	;; [unrolled: 1-line block ×5, first 2 shown]
	v_fmac_f64_e32 v[12:13], v[74:75], v[86:87]
	v_fmac_f64_e32 v[16:17], v[58:59], v[98:99]
	;; [unrolled: 1-line block ×4, first 2 shown]
	v_add_f64 v[32:33], v[68:69], -v[8:9]
	v_add_f64 v[48:49], v[8:9], v[68:69]
	v_fmac_f64_e32 v[0:1], v[62:63], v[78:79]
	v_fmac_f64_e32 v[4:5], v[66:67], v[82:83]
	v_add_f64 v[20:21], v[12:13], -v[16:17]
	v_add_f64 v[68:69], v[60:61], -v[64:65]
	v_mul_f64 v[22:23], v[22:23], v[82:83]
	v_add_f64 v[12:13], v[12:13], v[16:17]
	v_add_f64 v[60:61], v[60:61], v[64:65]
	v_add_f64 v[8:9], v[0:1], -v[4:5]
	v_fma_f64 v[22:23], v[66:67], v[80:81], -v[22:23]
	v_mul_f64 v[2:3], v[2:3], v[90:91]
	v_add_f64 v[0:1], v[0:1], v[4:5]
	v_add_f64 v[80:81], v[12:13], v[60:61]
	v_mul_f64 v[18:19], v[18:19], v[78:79]
	v_fma_f64 v[30:31], v[30:31], v[88:89], -v[2:3]
	v_mul_f64 v[2:3], v[6:7], v[94:95]
	v_add_f64 v[80:81], v[0:1], v[80:81]
	v_fma_f64 v[18:19], v[62:63], v[76:77], -v[18:19]
	v_mul_f64 v[10:11], v[10:11], v[86:87]
	v_mul_f64 v[14:15], v[14:15], v[98:99]
	v_fma_f64 v[70:71], v[70:71], v[92:93], -v[2:3]
	v_add_f64 v[4:5], v[0:1], -v[12:13]
	v_add_f64 v[64:65], v[60:61], -v[0:1]
	v_add_f64 v[0:1], v[52:53], v[80:81]
	v_add_f64 v[62:63], v[18:19], v[22:23]
	v_fma_f64 v[10:11], v[74:75], v[84:85], -v[10:11]
	v_fma_f64 v[14:15], v[58:59], v[96:97], -v[14:15]
	v_add_f64 v[76:77], v[30:31], v[70:71]
	v_mul_f64 v[64:65], v[64:65], s[10:11]
	v_mov_b64_e32 v[52:53], v[0:1]
	v_add_f64 v[58:59], v[10:11], v[14:15]
	v_add_f64 v[2:3], v[76:77], -v[62:63]
	v_mul_f64 v[16:17], v[4:5], s[12:13]
	v_fma_f64 v[4:5], s[12:13], v[4:5], v[64:65]
	v_fmac_f64_e32 v[52:53], s[18:19], v[80:81]
	v_mul_f64 v[78:79], v[2:3], s[10:11]
	v_add_f64 v[2:3], v[58:59], v[76:77]
	v_add_f64 v[80:81], v[4:5], v[52:53]
	v_add_f64 v[4:5], v[18:19], -v[22:23]
	v_add_f64 v[14:15], v[10:11], -v[14:15]
	;; [unrolled: 1-line block ×3, first 2 shown]
	v_add_f64 v[62:63], v[62:63], v[2:3]
	v_add_f64 v[10:11], v[4:5], v[14:15]
	v_add_f64 v[18:19], v[30:31], -v[70:71]
	v_add_f64 v[24:25], v[28:29], -v[72:73]
	v_add_f64 v[54:55], v[72:73], v[28:29]
	v_add_f64 v[28:29], v[8:9], v[20:21]
	v_add_f64 v[72:73], v[8:9], -v[20:21]
	v_add_f64 v[2:3], v[102:103], v[62:63]
	v_add_f64 v[22:23], v[10:11], v[18:19]
	v_add_f64 v[10:11], v[4:5], -v[14:15]
	v_add_f64 v[20:21], v[20:21], -v[68:69]
	v_mul_f64 v[72:73], v[72:73], s[8:9]
	v_add_f64 v[8:9], v[68:69], -v[8:9]
	v_mul_f64 v[74:75], v[66:67], s[12:13]
	v_fma_f64 v[6:7], s[12:13], v[66:67], v[78:79]
	v_mov_b64_e32 v[66:67], v[2:3]
	v_mul_f64 v[30:31], v[10:11], s[8:9]
	v_mul_f64 v[10:11], v[20:21], s[2:3]
	v_add_f64 v[58:59], v[58:59], -v[76:77]
	v_add_f64 v[28:29], v[28:29], v[68:69]
	v_fma_f64 v[100:101], s[22:23], v[8:9], v[72:73]
	v_fmac_f64_e32 v[66:67], s[18:19], v[62:63]
	v_fma_f64 v[68:69], v[8:9], s[20:21], -v[10:11]
	v_fma_f64 v[8:9], v[58:59], s[14:15], -v[78:79]
	v_add_f64 v[12:13], v[12:13], -v[60:61]
	v_add_f64 v[70:71], v[18:19], -v[4:5]
	v_add_f64 v[76:77], v[8:9], v[66:67]
	v_fma_f64 v[8:9], v[12:13], s[14:15], -v[64:65]
	v_add_f64 v[18:19], v[14:15], -v[18:19]
	v_fma_f64 v[20:21], v[20:21], s[2:3], -v[72:73]
	v_fmac_f64_e32 v[100:101], s[16:17], v[28:29]
	v_fma_f64 v[82:83], s[22:23], v[70:71], v[30:31]
	v_fmac_f64_e32 v[68:69], s[16:17], v[28:29]
	v_add_f64 v[60:61], v[8:9], v[52:53]
	v_mul_f64 v[8:9], v[18:19], s[2:3]
	v_fmac_f64_e32 v[20:21], s[16:17], v[28:29]
	v_fma_f64 v[28:29], v[18:19], s[2:3], -v[30:31]
	v_fma_f64 v[12:13], v[12:13], s[6:7], -v[16:17]
	v_add_f64 v[62:63], v[6:7], v[66:67]
	v_fmac_f64_e32 v[82:83], s[16:17], v[22:23]
	v_fma_f64 v[64:65], v[70:71], s[20:21], -v[8:9]
	v_fma_f64 v[14:15], v[58:59], s[6:7], -v[74:75]
	v_fmac_f64_e32 v[28:29], s[16:17], v[22:23]
	v_add_f64 v[16:17], v[12:13], v[52:53]
	v_lshl_add_u64 v[52:53], v[126:127], 4, v[128:129]
	v_fmac_f64_e32 v[64:65], s[16:17], v[22:23]
	v_add_f64 v[58:59], v[14:15], v[66:67]
	v_add_f64 v[12:13], v[28:29], v[16:17]
	v_add_f64 v[16:17], v[16:17], -v[28:29]
	v_add_f64 v[30:31], v[62:63], -v[100:101]
	v_add_f64 v[28:29], v[82:83], v[80:81]
	global_store_dwordx4 v[52:53], v[0:3], off
	global_store_dwordx4 v[52:53], v[28:31], off offset:2464
	v_add_f64 v[14:15], v[58:59], -v[20:21]
	v_add_co_u32_e32 v0, vcc, s0, v52
	v_add_f64 v[18:19], v[20:21], v[58:59]
	v_add_f64 v[22:23], v[76:77], -v[68:69]
	v_add_f64 v[20:21], v[64:65], v[60:61]
	v_addc_co_u32_e32 v1, vcc, 0, v53, vcc
	global_store_dwordx4 v[0:1], v[20:23], off offset:832
	global_store_dwordx4 v[0:1], v[16:19], off offset:3296
	v_add_co_u32_e32 v0, vcc, s1, v52
	s_movk_i32 s2, 0x3000
	s_nop 0
	v_addc_co_u32_e32 v1, vcc, 0, v53, vcc
	global_store_dwordx4 v[0:1], v[12:15], off offset:1664
	v_add_co_u32_e32 v0, vcc, s2, v52
	v_add_f64 v[10:11], v[68:69], v[76:77]
	v_add_f64 v[8:9], v[60:61], -v[64:65]
	v_addc_co_u32_e32 v1, vcc, 0, v53, vcc
	s_mov_b32 s2, 0x3531dec1
	v_add_f64 v[6:7], v[100:101], v[62:63]
	v_add_f64 v[4:5], v[80:81], -v[82:83]
	global_store_dwordx4 v[0:1], v[8:11], off offset:32
	global_store_dwordx4 v[0:1], v[4:7], off offset:2496
	v_mul_hi_u32 v0, v138, s2
	v_lshrrev_b32_e32 v0, 5, v0
	v_mul_u32_u24_e32 v126, 0x39c, v0
	v_lshl_add_u64 v[0:1], v[126:127], 4, v[52:53]
	v_add_co_u32_e32 v2, vcc, s0, v0
	global_store_dwordx4 v[0:1], v[36:39], off offset:1232
	global_store_dwordx4 v[0:1], v[54:57], off offset:3696
	v_addc_co_u32_e32 v3, vcc, 0, v1, vcc
	global_store_dwordx4 v[2:3], v[48:51], off offset:2064
	v_add_co_u32_e32 v2, vcc, s1, v0
	s_nop 1
	v_addc_co_u32_e32 v3, vcc, 0, v1, vcc
	v_add_co_u32_e32 v0, vcc, 0x3000, v0
	global_store_dwordx4 v[2:3], v[44:47], off offset:432
	global_store_dwordx4 v[2:3], v[40:43], off offset:2896
	v_addc_co_u32_e32 v1, vcc, 0, v1, vcc
	global_store_dwordx4 v[0:1], v[32:35], off offset:1264
	global_store_dwordx4 v[0:1], v[24:27], off offset:3728
.LBB0_20:
	s_endpgm
	.section	.rodata,"a",@progbits
	.p2align	6, 0x0
	.amdhsa_kernel fft_rtc_back_len1078_factors_2_11_7_7_wgs_231_tpt_77_halfLds_dp_ip_CI_unitstride_sbrr_dirReg
		.amdhsa_group_segment_fixed_size 0
		.amdhsa_private_segment_fixed_size 0
		.amdhsa_kernarg_size 88
		.amdhsa_user_sgpr_count 2
		.amdhsa_user_sgpr_dispatch_ptr 0
		.amdhsa_user_sgpr_queue_ptr 0
		.amdhsa_user_sgpr_kernarg_segment_ptr 1
		.amdhsa_user_sgpr_dispatch_id 0
		.amdhsa_user_sgpr_kernarg_preload_length 0
		.amdhsa_user_sgpr_kernarg_preload_offset 0
		.amdhsa_user_sgpr_private_segment_size 0
		.amdhsa_uses_dynamic_stack 0
		.amdhsa_enable_private_segment 0
		.amdhsa_system_sgpr_workgroup_id_x 1
		.amdhsa_system_sgpr_workgroup_id_y 0
		.amdhsa_system_sgpr_workgroup_id_z 0
		.amdhsa_system_sgpr_workgroup_info 0
		.amdhsa_system_vgpr_workitem_id 0
		.amdhsa_next_free_vgpr 180
		.amdhsa_next_free_sgpr 38
		.amdhsa_accum_offset 180
		.amdhsa_reserve_vcc 1
		.amdhsa_float_round_mode_32 0
		.amdhsa_float_round_mode_16_64 0
		.amdhsa_float_denorm_mode_32 3
		.amdhsa_float_denorm_mode_16_64 3
		.amdhsa_dx10_clamp 1
		.amdhsa_ieee_mode 1
		.amdhsa_fp16_overflow 0
		.amdhsa_tg_split 0
		.amdhsa_exception_fp_ieee_invalid_op 0
		.amdhsa_exception_fp_denorm_src 0
		.amdhsa_exception_fp_ieee_div_zero 0
		.amdhsa_exception_fp_ieee_overflow 0
		.amdhsa_exception_fp_ieee_underflow 0
		.amdhsa_exception_fp_ieee_inexact 0
		.amdhsa_exception_int_div_zero 0
	.end_amdhsa_kernel
	.text
.Lfunc_end0:
	.size	fft_rtc_back_len1078_factors_2_11_7_7_wgs_231_tpt_77_halfLds_dp_ip_CI_unitstride_sbrr_dirReg, .Lfunc_end0-fft_rtc_back_len1078_factors_2_11_7_7_wgs_231_tpt_77_halfLds_dp_ip_CI_unitstride_sbrr_dirReg
                                        ; -- End function
	.section	.AMDGPU.csdata,"",@progbits
; Kernel info:
; codeLenInByte = 12516
; NumSgprs: 44
; NumVgprs: 180
; NumAgprs: 0
; TotalNumVgprs: 180
; ScratchSize: 0
; MemoryBound: 1
; FloatMode: 240
; IeeeMode: 1
; LDSByteSize: 0 bytes/workgroup (compile time only)
; SGPRBlocks: 5
; VGPRBlocks: 22
; NumSGPRsForWavesPerEU: 44
; NumVGPRsForWavesPerEU: 180
; AccumOffset: 180
; Occupancy: 2
; WaveLimiterHint : 1
; COMPUTE_PGM_RSRC2:SCRATCH_EN: 0
; COMPUTE_PGM_RSRC2:USER_SGPR: 2
; COMPUTE_PGM_RSRC2:TRAP_HANDLER: 0
; COMPUTE_PGM_RSRC2:TGID_X_EN: 1
; COMPUTE_PGM_RSRC2:TGID_Y_EN: 0
; COMPUTE_PGM_RSRC2:TGID_Z_EN: 0
; COMPUTE_PGM_RSRC2:TIDIG_COMP_CNT: 0
; COMPUTE_PGM_RSRC3_GFX90A:ACCUM_OFFSET: 44
; COMPUTE_PGM_RSRC3_GFX90A:TG_SPLIT: 0
	.text
	.p2alignl 6, 3212836864
	.fill 256, 4, 3212836864
	.type	__hip_cuid_17d36132a5621218,@object ; @__hip_cuid_17d36132a5621218
	.section	.bss,"aw",@nobits
	.globl	__hip_cuid_17d36132a5621218
__hip_cuid_17d36132a5621218:
	.byte	0                               ; 0x0
	.size	__hip_cuid_17d36132a5621218, 1

	.ident	"AMD clang version 19.0.0git (https://github.com/RadeonOpenCompute/llvm-project roc-6.4.0 25133 c7fe45cf4b819c5991fe208aaa96edf142730f1d)"
	.section	".note.GNU-stack","",@progbits
	.addrsig
	.addrsig_sym __hip_cuid_17d36132a5621218
	.amdgpu_metadata
---
amdhsa.kernels:
  - .agpr_count:     0
    .args:
      - .actual_access:  read_only
        .address_space:  global
        .offset:         0
        .size:           8
        .value_kind:     global_buffer
      - .offset:         8
        .size:           8
        .value_kind:     by_value
      - .actual_access:  read_only
        .address_space:  global
        .offset:         16
        .size:           8
        .value_kind:     global_buffer
      - .actual_access:  read_only
        .address_space:  global
        .offset:         24
        .size:           8
        .value_kind:     global_buffer
      - .offset:         32
        .size:           8
        .value_kind:     by_value
      - .actual_access:  read_only
        .address_space:  global
        .offset:         40
        .size:           8
        .value_kind:     global_buffer
      - .actual_access:  read_only
        .address_space:  global
        .offset:         48
        .size:           8
        .value_kind:     global_buffer
      - .offset:         56
        .size:           4
        .value_kind:     by_value
      - .actual_access:  read_only
        .address_space:  global
        .offset:         64
        .size:           8
        .value_kind:     global_buffer
      - .actual_access:  read_only
        .address_space:  global
        .offset:         72
        .size:           8
        .value_kind:     global_buffer
      - .address_space:  global
        .offset:         80
        .size:           8
        .value_kind:     global_buffer
    .group_segment_fixed_size: 0
    .kernarg_segment_align: 8
    .kernarg_segment_size: 88
    .language:       OpenCL C
    .language_version:
      - 2
      - 0
    .max_flat_workgroup_size: 231
    .name:           fft_rtc_back_len1078_factors_2_11_7_7_wgs_231_tpt_77_halfLds_dp_ip_CI_unitstride_sbrr_dirReg
    .private_segment_fixed_size: 0
    .sgpr_count:     44
    .sgpr_spill_count: 0
    .symbol:         fft_rtc_back_len1078_factors_2_11_7_7_wgs_231_tpt_77_halfLds_dp_ip_CI_unitstride_sbrr_dirReg.kd
    .uniform_work_group_size: 1
    .uses_dynamic_stack: false
    .vgpr_count:     180
    .vgpr_spill_count: 0
    .wavefront_size: 64
amdhsa.target:   amdgcn-amd-amdhsa--gfx950
amdhsa.version:
  - 1
  - 2
...

	.end_amdgpu_metadata
